;; amdgpu-corpus repo=ROCm/rocFFT kind=compiled arch=gfx1201 opt=O3
	.text
	.amdgcn_target "amdgcn-amd-amdhsa--gfx1201"
	.amdhsa_code_object_version 6
	.protected	fft_rtc_back_len96_factors_3_4_8_wgs_192_tpt_8_dim2_sp_ip_CI_sbcc_twdbase8_3step_dirReg ; -- Begin function fft_rtc_back_len96_factors_3_4_8_wgs_192_tpt_8_dim2_sp_ip_CI_sbcc_twdbase8_3step_dirReg
	.globl	fft_rtc_back_len96_factors_3_4_8_wgs_192_tpt_8_dim2_sp_ip_CI_sbcc_twdbase8_3step_dirReg
	.p2align	8
	.type	fft_rtc_back_len96_factors_3_4_8_wgs_192_tpt_8_dim2_sp_ip_CI_sbcc_twdbase8_3step_dirReg,@function
fft_rtc_back_len96_factors_3_4_8_wgs_192_tpt_8_dim2_sp_ip_CI_sbcc_twdbase8_3step_dirReg: ; @fft_rtc_back_len96_factors_3_4_8_wgs_192_tpt_8_dim2_sp_ip_CI_sbcc_twdbase8_3step_dirReg
; %bb.0:
	s_load_b128 s[4:7], s[0:1], 0x10
	s_mov_b32 s3, 0
	s_mov_b32 s8, 0xaaaa0000
	;; [unrolled: 1-line block ×4, first 2 shown]
	s_movk_i32 s10, 0xffe8
	s_add_nc_u64 s[8:9], s[2:3], s[8:9]
	s_mov_b32 s11, -1
	s_add_co_i32 s9, s9, 0xaaaaa80
	s_mov_b32 s18, -1
	s_mul_u64 s[12:13], s[8:9], s[10:11]
	s_delay_alu instid0(SALU_CYCLE_1)
	s_mul_hi_u32 s2, s8, s12
	s_mul_i32 s15, s9, s12
	s_mul_hi_u32 s14, s9, s12
	s_mul_hi_u32 s16, s9, s13
	s_mul_i32 s12, s9, s13
	s_wait_kmcnt 0x0
	s_load_b64 s[10:11], s[4:5], 0x8
	s_mul_hi_u32 s5, s8, s13
	s_mul_i32 s4, s8, s13
	s_delay_alu instid0(SALU_CYCLE_1) | instskip(NEXT) | instid1(SALU_CYCLE_1)
	s_add_nc_u64 s[4:5], s[2:3], s[4:5]
	s_add_co_u32 s2, s4, s15
	s_add_co_ci_u32 s2, s5, s14
	s_add_co_ci_u32 s13, s16, 0
	s_mov_b64 s[16:17], 0
	s_add_nc_u64 s[4:5], s[2:3], s[12:13]
	s_delay_alu instid0(SALU_CYCLE_1) | instskip(NEXT) | instid1(VALU_DEP_1)
	v_add_co_u32 v1, s2, s8, s4
	s_cmp_lg_u32 s2, 0
	s_add_co_ci_u32 s12, s9, s5
	s_delay_alu instid0(VALU_DEP_1)
	v_readfirstlane_b32 s13, v1
	s_wait_kmcnt 0x0
	s_add_nc_u64 s[4:5], s[10:11], -1
	s_wait_alu 0xfffe
	s_mul_hi_u32 s9, s4, s12
	s_mul_i32 s8, s4, s12
	s_mul_hi_u32 s2, s4, s13
	s_mul_hi_u32 s15, s5, s13
	s_mul_i32 s13, s5, s13
	s_wait_alu 0xfffe
	s_add_nc_u64 s[8:9], s[2:3], s[8:9]
	s_mul_hi_u32 s14, s5, s12
	s_wait_alu 0xfffe
	s_add_co_u32 s2, s8, s13
	s_add_co_ci_u32 s2, s9, s15
	s_mul_i32 s12, s5, s12
	s_add_co_ci_u32 s13, s14, 0
	s_delay_alu instid0(SALU_CYCLE_1) | instskip(NEXT) | instid1(SALU_CYCLE_1)
	s_add_nc_u64 s[12:13], s[2:3], s[12:13]
	s_mul_u64 s[8:9], s[12:13], 24
	s_wait_alu 0xfffe
	v_sub_co_u32 v1, s2, s4, s8
	s_delay_alu instid0(VALU_DEP_1) | instskip(SKIP_1) | instid1(VALU_DEP_1)
	s_cmp_lg_u32 s2, 0
	s_sub_co_ci_u32 s14, s5, s9
	v_sub_co_u32 v2, s4, v1, 24
	s_delay_alu instid0(VALU_DEP_1) | instskip(SKIP_2) | instid1(VALU_DEP_2)
	s_cmp_lg_u32 s4, 0
	v_readfirstlane_b32 s15, v1
	s_sub_co_ci_u32 s8, s14, 0
	v_readfirstlane_b32 s2, v2
	s_add_nc_u64 s[4:5], s[12:13], 1
	s_delay_alu instid0(VALU_DEP_1)
	s_cmp_gt_u32 s2, 23
	s_cselect_b32 s2, -1, 0
	s_wait_alu 0xfffe
	s_cmp_eq_u32 s8, 0
	s_add_nc_u64 s[8:9], s[12:13], 2
	s_cselect_b32 s2, s2, -1
	s_delay_alu instid0(SALU_CYCLE_1)
	s_cmp_lg_u32 s2, 0
	s_wait_alu 0xfffe
	s_cselect_b32 s2, s8, s4
	s_cselect_b32 s4, s9, s5
	s_cmp_gt_u32 s15, 23
	s_load_b64 s[8:9], s[6:7], 0x0
	s_cselect_b32 s5, -1, 0
	s_cmp_eq_u32 s14, 0
	s_wait_alu 0xfffe
	s_cselect_b32 s5, s5, -1
	s_wait_alu 0xfffe
	s_cmp_lg_u32 s5, 0
	s_cselect_b32 s5, s4, s13
	s_cselect_b32 s4, s2, s12
	s_mov_b32 s2, ttmp9
	s_wait_alu 0xfffe
	s_add_nc_u64 s[4:5], s[4:5], 1
	s_wait_alu 0xfffe
	v_cmp_lt_u64_e64 s12, s[2:3], s[4:5]
	s_delay_alu instid0(VALU_DEP_1)
	s_and_b32 vcc_lo, exec_lo, s12
	s_cbranch_vccnz .LBB0_2
; %bb.1:
	v_cvt_f32_u32_e32 v1, s4
	s_sub_co_i32 s13, 0, s4
	s_mov_b32 s17, s3
	s_delay_alu instid0(VALU_DEP_1) | instskip(NEXT) | instid1(TRANS32_DEP_1)
	v_rcp_iflag_f32_e32 v1, v1
	v_mul_f32_e32 v1, 0x4f7ffffe, v1
	s_delay_alu instid0(VALU_DEP_1) | instskip(NEXT) | instid1(VALU_DEP_1)
	v_cvt_u32_f32_e32 v1, v1
	v_readfirstlane_b32 s12, v1
	s_delay_alu instid0(VALU_DEP_1) | instskip(NEXT) | instid1(SALU_CYCLE_1)
	s_mul_i32 s13, s13, s12
	s_mul_hi_u32 s13, s12, s13
	s_delay_alu instid0(SALU_CYCLE_1) | instskip(NEXT) | instid1(SALU_CYCLE_1)
	s_add_co_i32 s12, s12, s13
	s_mul_hi_u32 s12, s2, s12
	s_delay_alu instid0(SALU_CYCLE_1) | instskip(SKIP_2) | instid1(SALU_CYCLE_1)
	s_mul_i32 s13, s12, s4
	s_add_co_i32 s14, s12, 1
	s_sub_co_i32 s13, s2, s13
	s_sub_co_i32 s15, s13, s4
	s_cmp_ge_u32 s13, s4
	s_cselect_b32 s12, s14, s12
	s_cselect_b32 s13, s15, s13
	s_add_co_i32 s14, s12, 1
	s_cmp_ge_u32 s13, s4
	s_cselect_b32 s16, s14, s12
.LBB0_2:
	v_mul_u32_u24_e32 v1, 0xaab, v0
	s_mul_u64 s[12:13], s[16:17], s[4:5]
	s_load_b128 s[4:7], s[6:7], 0x8
	s_sub_nc_u64 s[2:3], s[2:3], s[12:13]
	s_clause 0x1
	s_load_b64 s[14:15], s[0:1], 0x0
	s_load_b64 s[12:13], s[0:1], 0x50
	v_lshrrev_b32_e32 v98, 16, v1
	s_mul_u64 s[20:21], s[2:3], 24
	s_delay_alu instid0(SALU_CYCLE_1) | instskip(NEXT) | instid1(SALU_CYCLE_1)
	s_add_nc_u64 s[22:23], s[20:21], 24
	v_cmp_gt_u64_e64 s2, s[22:23], s[10:11]
	s_delay_alu instid0(VALU_DEP_2)
	v_mul_lo_u16 v1, v98, 24
	v_cmp_le_u64_e64 s3, s[22:23], s[10:11]
	v_or_b32_e32 v100, 32, v98
	v_add_nc_u32_e32 v23, 8, v98
	v_or_b32_e32 v28, 16, v98
	v_sub_nc_u16 v1, v0, v1
	s_and_b32 vcc_lo, exec_lo, s2
	v_or_b32_e32 v99, 0x50, v98
	v_add_nc_u32_e32 v29, 24, v98
	s_delay_alu instid0(VALU_DEP_3)
	v_and_b32_e32 v101, 0xffff, v1
	s_wait_kmcnt 0x0
	s_mul_u64 s[22:23], s[20:21], s[4:5]
	s_mul_u64 s[6:7], s[6:7], s[16:17]
	s_wait_alu 0xfffe
	s_add_nc_u64 s[6:7], s[6:7], s[22:23]
	v_add_co_u32 v24, s2, s20, v101
	s_wait_alu 0xf1ff
	v_add_co_ci_u32_e64 v25, null, s21, 0, s2
	s_cbranch_vccnz .LBB0_4
; %bb.3:
	v_mad_co_u64_u32 v[1:2], null, s4, v101, 0
	v_mad_co_u64_u32 v[3:4], null, s8, v98, 0
	v_or_b32_e32 v13, 64, v98
	v_mad_co_u64_u32 v[5:6], null, s8, v100, 0
	s_lshl_b64 s[16:17], s[6:7], 3
	v_or_b32_e32 v31, 16, v98
	s_add_nc_u64 s[16:17], s[12:13], s[16:17]
	s_delay_alu instid0(VALU_DEP_4) | instskip(SKIP_1) | instid1(VALU_DEP_4)
	v_mad_co_u64_u32 v[7:8], null, s5, v101, v[2:3]
	v_mad_co_u64_u32 v[8:9], null, s8, v13, 0
	;; [unrolled: 1-line block ×3, first 2 shown]
	v_add_nc_u32_e32 v42, 8, v98
	s_delay_alu instid0(VALU_DEP_4) | instskip(NEXT) | instid1(VALU_DEP_4)
	v_dual_mov_b32 v2, v7 :: v_dual_add_nc_u32 v17, 40, v98
	v_dual_mov_b32 v7, v9 :: v_dual_add_nc_u32 v36, 0x58, v98
	s_delay_alu instid0(VALU_DEP_3) | instskip(SKIP_1) | instid1(VALU_DEP_4)
	v_mad_co_u64_u32 v[11:12], null, s8, v42, 0
	v_mov_b32_e32 v4, v10
	v_lshlrev_b64_e32 v[1:2], 3, v[1:2]
	s_delay_alu instid0(VALU_DEP_4) | instskip(SKIP_1) | instid1(VALU_DEP_4)
	v_mad_co_u64_u32 v[9:10], null, s9, v100, v[6:7]
	v_mad_co_u64_u32 v[13:14], null, s9, v13, v[7:8]
	v_lshlrev_b64_e32 v[3:4], 3, v[3:4]
	s_delay_alu instid0(VALU_DEP_4) | instskip(SKIP_1) | instid1(VALU_DEP_4)
	v_add_co_u32 v37, vcc_lo, s16, v1
	v_add_co_ci_u32_e32 v38, vcc_lo, s17, v2, vcc_lo
	v_dual_mov_b32 v6, v9 :: v_dual_mov_b32 v9, v13
	s_delay_alu instid0(VALU_DEP_3) | instskip(SKIP_1) | instid1(VALU_DEP_3)
	v_add_co_u32 v1, vcc_lo, v37, v3
	s_wait_alu 0xfffd
	v_add_co_ci_u32_e32 v2, vcc_lo, v38, v4, vcc_lo
	s_delay_alu instid0(VALU_DEP_3) | instskip(SKIP_3) | instid1(VALU_DEP_3)
	v_lshlrev_b64_e32 v[4:5], 3, v[5:6]
	v_mov_b32_e32 v3, v12
	v_mad_co_u64_u32 v[13:14], null, s8, v17, 0
	v_add_nc_u32_e32 v30, 24, v98
	v_mad_co_u64_u32 v[6:7], null, s9, v42, v[3:4]
	v_add_co_u32 v15, vcc_lo, v37, v4
	v_lshlrev_b64_e32 v[3:4], 3, v[8:9]
	v_add_nc_u32_e32 v21, 0x48, v98
	s_wait_alu 0xfffd
	v_add_co_ci_u32_e32 v16, vcc_lo, v38, v5, vcc_lo
	v_dual_mov_b32 v12, v6 :: v_dual_mov_b32 v5, v14
	s_delay_alu instid0(VALU_DEP_3) | instskip(SKIP_4) | instid1(VALU_DEP_3)
	v_mad_co_u64_u32 v[9:10], null, s8, v21, 0
	v_add_co_u32 v6, vcc_lo, v37, v3
	s_wait_alu 0xfffd
	v_add_co_ci_u32_e32 v7, vcc_lo, v38, v4, vcc_lo
	v_lshlrev_b64_e32 v[3:4], 3, v[11:12]
	v_mad_co_u64_u32 v[11:12], null, s9, v17, v[5:6]
	v_mov_b32_e32 v5, v10
	v_mad_co_u64_u32 v[17:18], null, s8, v31, 0
	s_delay_alu instid0(VALU_DEP_4)
	v_add_co_u32 v19, vcc_lo, v37, v3
	s_wait_alu 0xfffd
	v_add_co_ci_u32_e32 v20, vcc_lo, v38, v4, vcc_lo
	v_mov_b32_e32 v14, v11
	v_mad_co_u64_u32 v[10:11], null, s9, v21, v[5:6]
	s_clause 0x3
	global_load_b64 v[3:4], v[1:2], off
	global_load_b64 v[11:12], v[15:16], off
	;; [unrolled: 1-line block ×4, first 2 shown]
	v_or_b32_e32 v21, 48, v98
	v_mad_co_u64_u32 v[19:20], null, s8, v99, 0
	v_mov_b32_e32 v5, v18
	v_lshlrev_b64_e32 v[13:14], 3, v[13:14]
	s_delay_alu instid0(VALU_DEP_4) | instskip(SKIP_1) | instid1(VALU_DEP_4)
	v_mad_co_u64_u32 v[15:16], null, s8, v21, 0
	v_lshlrev_b64_e32 v[9:10], 3, v[9:10]
	v_mad_co_u64_u32 v[5:6], null, s9, v31, v[5:6]
	s_delay_alu instid0(VALU_DEP_4)
	v_add_co_u32 v13, vcc_lo, v37, v13
	s_wait_alu 0xfffd
	v_add_co_ci_u32_e32 v14, vcc_lo, v38, v14, vcc_lo
	v_add_nc_u32_e32 v35, 56, v98
	v_add_co_u32 v9, vcc_lo, v37, v9
	v_dual_mov_b32 v18, v5 :: v_dual_mov_b32 v5, v16
	s_delay_alu instid0(VALU_DEP_3) | instskip(SKIP_2) | instid1(VALU_DEP_3)
	v_mad_co_u64_u32 v[26:27], null, s8, v35, 0
	s_wait_alu 0xfffd
	v_add_co_ci_u32_e32 v10, vcc_lo, v38, v10, vcc_lo
	v_mad_co_u64_u32 v[5:6], null, s9, v21, v[5:6]
	v_mad_co_u64_u32 v[21:22], null, s8, v30, 0
	v_mov_b32_e32 v6, v20
	v_lshlrev_b64_e32 v[17:18], 3, v[17:18]
	s_delay_alu instid0(VALU_DEP_4) | instskip(NEXT) | instid1(VALU_DEP_2)
	v_mov_b32_e32 v16, v5
	v_add_co_u32 v17, vcc_lo, v37, v17
	s_delay_alu instid0(VALU_DEP_2) | instskip(SKIP_1) | instid1(VALU_DEP_4)
	v_lshlrev_b64_e32 v[15:16], 3, v[15:16]
	s_wait_alu 0xfffd
	v_add_co_ci_u32_e32 v18, vcc_lo, v38, v18, vcc_lo
	s_delay_alu instid0(VALU_DEP_2) | instskip(SKIP_1) | instid1(VALU_DEP_3)
	v_add_co_u32 v15, vcc_lo, v37, v15
	s_wait_alu 0xfffd
	v_add_co_ci_u32_e32 v16, vcc_lo, v38, v16, vcc_lo
	s_wait_loadcnt 0x1
	v_mad_co_u64_u32 v[5:6], null, s9, v99, v[6:7]
	v_mov_b32_e32 v6, v22
	s_delay_alu instid0(VALU_DEP_1) | instskip(SKIP_3) | instid1(VALU_DEP_4)
	v_mad_co_u64_u32 v[32:33], null, s9, v30, v[6:7]
	v_mad_co_u64_u32 v[33:34], null, s8, v36, 0
	v_mov_b32_e32 v6, v27
	v_mov_b32_e32 v20, v5
	;; [unrolled: 1-line block ×3, first 2 shown]
	s_delay_alu instid0(VALU_DEP_3) | instskip(SKIP_1) | instid1(VALU_DEP_4)
	v_mad_co_u64_u32 v[5:6], null, s9, v35, v[6:7]
	v_mov_b32_e32 v6, v34
	v_lshlrev_b64_e32 v[19:20], 3, v[19:20]
	s_delay_alu instid0(VALU_DEP_4) | instskip(NEXT) | instid1(VALU_DEP_3)
	v_lshlrev_b64_e32 v[21:22], 3, v[21:22]
	v_mad_co_u64_u32 v[34:35], null, s9, v36, v[6:7]
	v_mov_b32_e32 v27, v5
	s_delay_alu instid0(VALU_DEP_4) | instskip(SKIP_2) | instid1(VALU_DEP_3)
	v_add_co_u32 v5, vcc_lo, v37, v19
	s_wait_alu 0xfffd
	v_add_co_ci_u32_e32 v6, vcc_lo, v38, v20, vcc_lo
	v_lshlrev_b64_e32 v[19:20], 3, v[26:27]
	v_add_co_u32 v35, vcc_lo, v37, v21
	s_wait_alu 0xfffd
	v_add_co_ci_u32_e32 v36, vcc_lo, v38, v22, vcc_lo
	v_lshlrev_b64_e32 v[21:22], 3, v[33:34]
	s_delay_alu instid0(VALU_DEP_4) | instskip(SKIP_2) | instid1(VALU_DEP_3)
	v_add_co_u32 v32, vcc_lo, v37, v19
	s_wait_alu 0xfffd
	v_add_co_ci_u32_e32 v33, vcc_lo, v38, v20, vcc_lo
	v_add_co_u32 v37, vcc_lo, v37, v21
	s_wait_alu 0xfffd
	v_add_co_ci_u32_e32 v38, vcc_lo, v38, v22, vcc_lo
	s_clause 0x7
	global_load_b64 v[26:27], v[13:14], off
	global_load_b64 v[21:22], v[9:10], off
	;; [unrolled: 1-line block ×8, first 2 shown]
	s_cbranch_execz .LBB0_5
	s_branch .LBB0_10
.LBB0_4:
                                        ; implicit-def: $vgpr17
                                        ; implicit-def: $vgpr15
                                        ; implicit-def: $vgpr13
                                        ; implicit-def: $vgpr5
                                        ; implicit-def: $vgpr19
                                        ; implicit-def: $vgpr9
                                        ; implicit-def: $vgpr21
                                        ; implicit-def: $vgpr26
                                        ; implicit-def: $vgpr1
                                        ; implicit-def: $vgpr7
                                        ; implicit-def: $vgpr11
                                        ; implicit-def: $vgpr3
                                        ; implicit-def: $vgpr42
                                        ; implicit-def: $vgpr31
                                        ; implicit-def: $vgpr30
	s_and_not1_b32 vcc_lo, exec_lo, s18
	s_cbranch_vccnz .LBB0_10
.LBB0_5:
	s_mov_b32 s2, exec_lo
                                        ; implicit-def: $vgpr42
                                        ; implicit-def: $vgpr31
                                        ; implicit-def: $vgpr30
	v_cmpx_le_u64_e64 s[10:11], v[24:25]
	s_wait_alu 0xfffe
	s_xor_b32 s2, exec_lo, s2
; %bb.6:
	v_add_nc_u32_e32 v42, 8, v98
	v_or_b32_e32 v31, 16, v98
	v_add_nc_u32_e32 v30, 24, v98
                                        ; implicit-def: $vgpr23
                                        ; implicit-def: $vgpr28
                                        ; implicit-def: $vgpr29
; %bb.7:
	s_wait_alu 0xfffe
	s_or_saveexec_b32 s2, s2
                                        ; implicit-def: $vgpr17
                                        ; implicit-def: $vgpr15
                                        ; implicit-def: $vgpr13
                                        ; implicit-def: $vgpr5
                                        ; implicit-def: $vgpr19
                                        ; implicit-def: $vgpr9
                                        ; implicit-def: $vgpr21
                                        ; implicit-def: $vgpr26
                                        ; implicit-def: $vgpr1
                                        ; implicit-def: $vgpr7
                                        ; implicit-def: $vgpr11
                                        ; implicit-def: $vgpr3
	s_wait_alu 0xfffe
	s_xor_b32 exec_lo, exec_lo, s2
	s_cbranch_execz .LBB0_9
; %bb.8:
	s_wait_loadcnt 0x8
	v_mad_co_u64_u32 v[1:2], null, s4, v101, 0
	v_mad_co_u64_u32 v[3:4], null, s8, v98, 0
	s_wait_loadcnt 0x2
	v_mad_co_u64_u32 v[5:6], null, s8, v100, 0
	s_wait_loadcnt 0x1
	v_or_b32_e32 v14, 64, v98
	v_mad_co_u64_u32 v[12:13], null, s8, v23, 0
	s_lshl_b64 s[16:17], s[6:7], 3
	s_delay_alu instid0(VALU_DEP_4) | instskip(NEXT) | instid1(VALU_DEP_4)
	v_mad_co_u64_u32 v[7:8], null, s5, v101, v[2:3]
	v_mad_co_u64_u32 v[8:9], null, s9, v98, v[4:5]
	s_wait_alu 0xfffe
	s_add_nc_u64 s[16:17], s[12:13], s[16:17]
	v_mad_co_u64_u32 v[18:19], null, s8, v28, 0
	v_or_b32_e32 v22, 48, v98
	s_delay_alu instid0(VALU_DEP_4) | instskip(SKIP_4) | instid1(VALU_DEP_4)
	v_mad_co_u64_u32 v[9:10], null, s9, v100, v[6:7]
	v_mad_co_u64_u32 v[10:11], null, s8, v14, 0
	v_mov_b32_e32 v2, v7
	v_mov_b32_e32 v4, v8
	v_mad_co_u64_u32 v[26:27], null, s8, v29, 0
	v_dual_mov_b32 v42, v23 :: v_dual_mov_b32 v7, v11
	s_delay_alu instid0(VALU_DEP_4) | instskip(NEXT) | instid1(VALU_DEP_2)
	v_lshlrev_b64_e32 v[1:2], 3, v[1:2]
	v_mad_co_u64_u32 v[7:8], null, s9, v14, v[7:8]
	s_wait_alu 0xfffe
	s_delay_alu instid0(VALU_DEP_2)
	v_add_co_u32 v35, vcc_lo, s16, v1
	v_mov_b32_e32 v1, v13
	s_wait_alu 0xfffd
	v_add_co_ci_u32_e32 v36, vcc_lo, s17, v2, vcc_lo
	v_lshlrev_b64_e32 v[3:4], 3, v[3:4]
	v_dual_mov_b32 v6, v9 :: v_dual_mov_b32 v11, v7
	v_mad_co_u64_u32 v[1:2], null, s9, v23, v[1:2]
	s_wait_loadcnt 0x0
	v_add_nc_u32_e32 v16, 40, v98
	s_delay_alu instid0(VALU_DEP_4) | instskip(SKIP_2) | instid1(VALU_DEP_4)
	v_add_co_u32 v2, vcc_lo, v35, v3
	s_wait_alu 0xfffd
	v_add_co_ci_u32_e32 v3, vcc_lo, v36, v4, vcc_lo
	v_dual_mov_b32 v13, v1 :: v_dual_add_nc_u32 v4, 0x48, v98
	v_mad_co_u64_u32 v[14:15], null, s8, v16, 0
	v_lshlrev_b64_e32 v[7:8], 3, v[10:11]
	v_lshlrev_b64_e32 v[5:6], 3, v[5:6]
	s_delay_alu instid0(VALU_DEP_4) | instskip(NEXT) | instid1(VALU_DEP_4)
	v_lshlrev_b64_e32 v[9:10], 3, v[12:13]
	v_mov_b32_e32 v1, v15
	s_delay_alu instid0(VALU_DEP_3) | instskip(SKIP_1) | instid1(VALU_DEP_4)
	v_add_co_u32 v5, vcc_lo, v35, v5
	s_wait_alu 0xfffd
	v_add_co_ci_u32_e32 v6, vcc_lo, v36, v6, vcc_lo
	s_delay_alu instid0(VALU_DEP_3)
	v_mad_co_u64_u32 v[11:12], null, s9, v16, v[1:2]
	v_mad_co_u64_u32 v[16:17], null, s8, v4, 0
	v_add_co_u32 v7, vcc_lo, v35, v7
	s_wait_alu 0xfffd
	v_add_co_ci_u32_e32 v8, vcc_lo, v36, v8, vcc_lo
	v_add_co_u32 v9, vcc_lo, v35, v9
	s_delay_alu instid0(VALU_DEP_4) | instskip(SKIP_2) | instid1(VALU_DEP_2)
	v_mov_b32_e32 v1, v17
	s_wait_alu 0xfffd
	v_add_co_ci_u32_e32 v10, vcc_lo, v36, v10, vcc_lo
	v_mad_co_u64_u32 v[20:21], null, s9, v4, v[1:2]
	s_delay_alu instid0(VALU_DEP_1)
	v_mov_b32_e32 v17, v20
	v_mad_co_u64_u32 v[20:21], null, s8, v99, 0
	v_mov_b32_e32 v15, v11
	s_clause 0x3
	global_load_b64 v[3:4], v[2:3], off
	global_load_b64 v[11:12], v[5:6], off
	;; [unrolled: 1-line block ×4, first 2 shown]
	v_mov_b32_e32 v5, v19
	v_lshlrev_b64_e32 v[9:10], 3, v[14:15]
	v_mad_co_u64_u32 v[13:14], null, s8, v22, 0
	s_delay_alu instid0(VALU_DEP_3) | instskip(NEXT) | instid1(VALU_DEP_3)
	v_mad_co_u64_u32 v[5:6], null, s9, v28, v[5:6]
	v_add_co_u32 v9, vcc_lo, v35, v9
	s_wait_alu 0xfffd
	s_delay_alu instid0(VALU_DEP_4) | instskip(NEXT) | instid1(VALU_DEP_3)
	v_add_co_ci_u32_e32 v10, vcc_lo, v36, v10, vcc_lo
	v_dual_mov_b32 v6, v14 :: v_dual_mov_b32 v19, v5
	s_wait_loadcnt 0x1
	s_delay_alu instid0(VALU_DEP_1) | instskip(SKIP_2) | instid1(VALU_DEP_3)
	v_mad_co_u64_u32 v[5:6], null, s9, v22, v[6:7]
	v_add_nc_u32_e32 v22, 0x58, v98
	v_mov_b32_e32 v6, v21
	v_mov_b32_e32 v14, v5
	v_lshlrev_b64_e32 v[15:16], 3, v[16:17]
	v_lshlrev_b64_e32 v[17:18], 3, v[18:19]
	v_add_nc_u32_e32 v19, 56, v98
	v_mad_co_u64_u32 v[5:6], null, s9, v99, v[6:7]
	v_mov_b32_e32 v6, v27
	v_add_co_u32 v15, vcc_lo, v35, v15
	s_delay_alu instid0(VALU_DEP_4) | instskip(NEXT) | instid1(VALU_DEP_3)
	v_mad_co_u64_u32 v[30:31], null, s8, v19, 0
	v_mad_co_u64_u32 v[32:33], null, s9, v29, v[6:7]
	;; [unrolled: 1-line block ×3, first 2 shown]
	v_mov_b32_e32 v21, v5
	v_lshlrev_b64_e32 v[13:14], 3, v[13:14]
	v_mov_b32_e32 v6, v31
	s_wait_alu 0xfffd
	v_add_co_ci_u32_e32 v16, vcc_lo, v36, v16, vcc_lo
	v_add_co_u32 v17, vcc_lo, v35, v17
	s_delay_alu instid0(VALU_DEP_3)
	v_mad_co_u64_u32 v[5:6], null, s9, v19, v[6:7]
	v_mov_b32_e32 v6, v34
	v_lshlrev_b64_e32 v[19:20], 3, v[20:21]
	s_wait_alu 0xfffd
	v_add_co_ci_u32_e32 v18, vcc_lo, v36, v18, vcc_lo
	v_add_co_u32 v13, vcc_lo, v35, v13
	v_mad_co_u64_u32 v[21:22], null, s9, v22, v[6:7]
	v_mov_b32_e32 v27, v32
	v_mov_b32_e32 v31, v5
	s_wait_alu 0xfffd
	v_add_co_ci_u32_e32 v14, vcc_lo, v36, v14, vcc_lo
	v_add_co_u32 v5, vcc_lo, v35, v19
	v_mov_b32_e32 v34, v21
	v_lshlrev_b64_e32 v[26:27], 3, v[26:27]
	s_wait_alu 0xfffd
	v_add_co_ci_u32_e32 v6, vcc_lo, v36, v20, vcc_lo
	v_lshlrev_b64_e32 v[19:20], 3, v[30:31]
	v_lshlrev_b64_e32 v[21:22], 3, v[33:34]
	s_delay_alu instid0(VALU_DEP_4) | instskip(SKIP_2) | instid1(VALU_DEP_4)
	v_add_co_u32 v30, vcc_lo, v35, v26
	s_wait_alu 0xfffd
	v_add_co_ci_u32_e32 v31, vcc_lo, v36, v27, vcc_lo
	v_add_co_u32 v32, vcc_lo, v35, v19
	s_wait_alu 0xfffd
	v_add_co_ci_u32_e32 v33, vcc_lo, v36, v20, vcc_lo
	;; [unrolled: 3-line block ×3, first 2 shown]
	s_clause 0x7
	global_load_b64 v[26:27], v[9:10], off
	global_load_b64 v[21:22], v[15:16], off
	;; [unrolled: 1-line block ×8, first 2 shown]
	v_dual_mov_b32 v31, v28 :: v_dual_mov_b32 v30, v29
.LBB0_9:
	s_or_b32 exec_lo, exec_lo, s2
.LBB0_10:
	v_dual_add_f32 v23, v11, v7 :: v_dual_add_f32 v32, v12, v8
	v_dual_add_f32 v28, v3, v11 :: v_dual_sub_f32 v29, v12, v8
	v_cmp_gt_u32_e64 s2, 0x60, v0
	s_delay_alu instid0(VALU_DEP_3) | instskip(SKIP_1) | instid1(VALU_DEP_3)
	v_dual_fmac_f32 v3, -0.5, v23 :: v_dual_add_f32 v12, v4, v12
	s_wait_loadcnt 0x6
	v_dual_add_f32 v23, v26, v21 :: v_dual_add_f32 v28, v28, v7
	v_fmac_f32_e32 v4, -0.5, v32
	s_delay_alu instid0(VALU_DEP_3) | instskip(SKIP_3) | instid1(VALU_DEP_4)
	v_dual_fmamk_f32 v32, v29, 0xbf5db3d7, v3 :: v_dual_sub_f32 v7, v11, v7
	v_fmac_f32_e32 v3, 0x3f5db3d7, v29
	v_dual_add_f32 v29, v12, v8 :: v_dual_add_f32 v8, v1, v26
	v_dual_fmac_f32 v1, -0.5, v23 :: v_dual_sub_f32 v12, v27, v22
	v_fmamk_f32 v33, v7, 0x3f5db3d7, v4
	s_delay_alu instid0(VALU_DEP_3) | instskip(NEXT) | instid1(VALU_DEP_3)
	v_dual_fmac_f32 v4, 0xbf5db3d7, v7 :: v_dual_add_f32 v7, v8, v21
	v_dual_add_f32 v8, v27, v22 :: v_dual_fmamk_f32 v11, v12, 0xbf5db3d7, v1
	v_add_f32_e32 v23, v2, v27
	s_wait_loadcnt 0x3
	v_dual_fmac_f32 v1, 0x3f5db3d7, v12 :: v_dual_add_f32 v12, v19, v17
	s_delay_alu instid0(VALU_DEP_3) | instskip(NEXT) | instid1(VALU_DEP_3)
	v_dual_fmac_f32 v2, -0.5, v8 :: v_dual_sub_f32 v21, v26, v21
	v_add_f32_e32 v8, v23, v22
	s_delay_alu instid0(VALU_DEP_3) | instskip(NEXT) | instid1(VALU_DEP_3)
	v_dual_add_f32 v22, v9, v17 :: v_dual_fmac_f32 v9, -0.5, v12
	v_dual_sub_f32 v23, v18, v20 :: v_dual_fmamk_f32 v12, v21, 0x3f5db3d7, v2
	s_delay_alu instid0(VALU_DEP_2) | instskip(SKIP_1) | instid1(VALU_DEP_3)
	v_dual_fmac_f32 v2, 0xbf5db3d7, v21 :: v_dual_add_f32 v21, v19, v22
	v_add_f32_e32 v22, v20, v18
	v_fmamk_f32 v26, v23, 0xbf5db3d7, v9
	v_dual_add_f32 v18, v10, v18 :: v_dual_sub_f32 v17, v17, v19
	v_fmac_f32_e32 v9, 0x3f5db3d7, v23
	s_wait_loadcnt 0x0
	v_dual_add_f32 v23, v13, v15 :: v_dual_fmac_f32 v10, -0.5, v22
	s_delay_alu instid0(VALU_DEP_3) | instskip(SKIP_2) | instid1(VALU_DEP_4)
	v_add_f32_e32 v22, v20, v18
	v_add_f32_e32 v18, v5, v13
	v_dual_sub_f32 v20, v14, v16 :: v_dual_lshlrev_b32 v49, 3, v101
	v_fmac_f32_e32 v5, -0.5, v23
	v_add_f32_e32 v23, v14, v16
	v_fmamk_f32 v27, v17, 0x3f5db3d7, v10
	v_fmac_f32_e32 v10, 0xbf5db3d7, v17
	s_delay_alu instid0(VALU_DEP_4) | instskip(NEXT) | instid1(VALU_DEP_4)
	v_dual_add_f32 v14, v6, v14 :: v_dual_fmamk_f32 v19, v20, 0xbf5db3d7, v5
	v_dual_fmac_f32 v6, -0.5, v23 :: v_dual_fmac_f32 v5, 0x3f5db3d7, v20
	v_mul_u32_u24_e32 v23, 0x240, v98
	v_sub_f32_e32 v13, v13, v15
	v_add_f32_e32 v17, v18, v15
	v_add_f32_e32 v18, v14, v16
	v_mul_i32_i24_e32 v14, 0x240, v42
	v_add3_u32 v16, 0, v23, v49
	v_fmamk_f32 v20, v13, 0x3f5db3d7, v6
	v_fmac_f32_e32 v6, 0xbf5db3d7, v13
	v_mul_lo_u16 v13, 0x56, v98
	v_add3_u32 v14, 0, v14, v49
	ds_store_2addr_b64 v16, v[28:29], v[32:33] offset1:24
	ds_store_b64 v16, v[3:4] offset:384
	v_mul_i32_i24_e32 v3, 0x240, v31
	v_and_b32_e32 v4, 0xff, v42
	v_lshrrev_b16 v23, 8, v13
	ds_store_b64 v14, v[1:2] offset:384
	ds_store_2addr_b64 v14, v[7:8], v[11:12] offset1:24
	v_add3_u32 v2, 0, v3, v49
	v_mul_lo_u16 v1, 0xab, v4
	v_mul_lo_u16 v3, v23, 3
	v_and_b32_e32 v4, 0xff, v31
	v_mul_i32_i24_e32 v7, 0x240, v30
	ds_store_2addr_b64 v2, v[21:22], v[26:27] offset1:24
	v_lshrrev_b16 v26, 9, v1
	v_sub_nc_u16 v3, v98, v3
	v_mul_lo_u16 v4, 0xab, v4
	ds_store_b64 v2, v[9:10] offset:384
	v_add3_u32 v21, 0, v7, v49
	v_mul_lo_u16 v2, v26, 3
	v_and_b32_e32 v32, 0xff, v3
	v_lshrrev_b16 v27, 9, v4
	s_mov_b32 s16, 0
	ds_store_2addr_b64 v21, v[17:18], v[19:20] offset1:24
	v_sub_nc_u16 v2, v42, v2
	v_mul_u32_u24_e32 v3, 3, v32
	v_mul_lo_u16 v4, v27, 3
	v_mul_i32_i24_e32 v17, 0xc0, v31
	v_mad_i32_i24 v52, 0xfffffe80, v30, v21
	v_and_b32_e32 v45, 0xff, v2
	v_lshlrev_b32_e32 v3, 3, v3
	ds_store_b64 v21, v[5:6] offset:384
	global_wb scope:SCOPE_SE
	s_wait_dscnt 0x0
	s_barrier_signal -1
	s_barrier_wait -1
	global_inv scope:SCOPE_SE
	global_load_b64 v[34:35], v3, s[14:15] offset:16
	v_sub_nc_u16 v2, v31, v4
	v_mul_u32_u24_e32 v8, 3, v45
	global_load_b128 v[4:7], v3, s[14:15]
	v_and_b32_e32 v31, 0xffff, v26
	v_and_b32_e32 v33, 0xffff, v27
	;; [unrolled: 1-line block ×3, first 2 shown]
	v_lshlrev_b32_e32 v2, 3, v8
	v_add3_u32 v43, 0, v17, v49
	global_load_b128 v[8:11], v2, s[14:15]
	v_mul_u32_u24_e32 v3, 3, v46
	s_delay_alu instid0(VALU_DEP_1)
	v_lshlrev_b32_e32 v3, 3, v3
	s_clause 0x2
	global_load_b64 v[36:37], v2, s[14:15] offset:16
	global_load_b128 v[12:15], v3, s[14:15]
	global_load_b64 v[38:39], v3, s[14:15] offset:16
	v_mad_i32_i24 v2, 0xfffffe80, v98, v16
	v_mul_i32_i24_e32 v3, 0xc0, v42
	ds_load_b64 v[40:41], v52
	ds_load_2addr_stride64_b64 v[26:29], v2 offset0:27 offset1:30
	ds_load_2addr_stride64_b64 v[16:19], v2 offset1:12
	v_and_b32_e32 v20, 0xffff, v23
	v_add3_u32 v3, 0, v3, v49
	s_delay_alu instid0(VALU_DEP_2)
	v_mul_u32_u24_e32 v30, 12, v20
	ds_load_2addr_stride64_b64 v[20:23], v2 offset0:15 offset1:18
	s_wait_loadcnt_dscnt 0x502
	v_mul_f32_e32 v56, v35, v27
	v_mul_u32_u24_e32 v48, 12, v31
	v_mul_f32_e32 v35, v35, v26
	v_or_b32_e32 v47, v30, v32
	s_wait_loadcnt_dscnt 0x400
	v_dual_mul_f32 v55, v7, v23 :: v_dual_fmac_f32 v56, v34, v26
	v_mul_u32_u24_e32 v50, 12, v33
	ds_load_2addr_stride64_b64 v[30:33], v2 offset0:21 offset1:24
	ds_load_b64 v[43:44], v43
	v_mul_u32_u24_e32 v51, 0xc0, v47
	v_or_b32_e32 v53, v48, v45
	v_mul_f32_e32 v7, v7, v22
	v_or_b32_e32 v50, v50, v46
	ds_load_b64 v[45:46], v3
	ds_load_b64 v[47:48], v2 offset:16896
	v_add3_u32 v51, 0, v51, v49
	v_mul_u32_u24_e32 v53, 0xc0, v53
	v_add_nc_u32_e32 v54, 0x100, v2
	v_mul_u32_u24_e32 v50, 0xc0, v50
	s_wait_loadcnt 0x3
	v_dual_fmac_f32 v55, v6, v22 :: v_dual_mul_f32 v22, v9, v19
	v_add3_u32 v53, 0, v53, v49
	s_wait_loadcnt 0x2
	v_mul_f32_e32 v26, v28, v37
	v_add3_u32 v49, 0, v50, v49
	v_mul_f32_e32 v50, v5, v41
	v_mul_f32_e32 v5, v5, v40
	global_wb scope:SCOPE_SE
	s_wait_loadcnt_dscnt 0x0
	s_barrier_signal -1
	s_barrier_wait -1
	v_fmac_f32_e32 v50, v4, v40
	v_fma_f32 v4, v4, v41, -v5
	v_fma_f32 v5, v6, v23, -v7
	;; [unrolled: 1-line block ×3, first 2 shown]
	v_mul_f32_e32 v7, v9, v18
	v_mul_f32_e32 v9, v31, v11
	;; [unrolled: 1-line block ×4, first 2 shown]
	v_sub_f32_e32 v6, v4, v6
	global_inv scope:SCOPE_SE
	v_fmac_f32_e32 v9, v30, v10
	v_dual_mul_f32 v27, v21, v13 :: v_dual_fmac_f32 v34, v32, v14
	v_mul_f32_e32 v13, v20, v13
	v_dual_mul_f32 v23, v29, v37 :: v_dual_fmac_f32 v22, v8, v18
	v_mul_f32_e32 v35, v48, v39
	v_mul_f32_e32 v37, v47, v39
	v_fma_f32 v18, v8, v19, -v7
	v_fma_f32 v7, v31, v10, -v11
	;; [unrolled: 1-line block ×3, first 2 shown]
	v_sub_f32_e32 v11, v16, v55
	v_mul_f32_e32 v15, v32, v15
	v_dual_fmac_f32 v23, v28, v36 :: v_dual_sub_f32 v32, v43, v34
	v_fma_f32 v19, v4, 2.0, -v6
	s_delay_alu instid0(VALU_DEP_4) | instskip(NEXT) | instid1(VALU_DEP_4)
	v_add_f32_e32 v4, v11, v6
	v_fma_f32 v10, v33, v14, -v15
	v_fma_f32 v14, v48, v38, -v37
	v_fma_f32 v15, v16, 2.0, -v11
	v_fmac_f32_e32 v27, v20, v12
	v_fma_f32 v12, v21, v12, -v13
	v_sub_f32_e32 v13, v17, v5
	v_dual_sub_f32 v20, v45, v9 :: v_dual_fmac_f32 v35, v47, v38
	v_sub_f32_e32 v26, v18, v8
	v_sub_f32_e32 v5, v50, v56
	;; [unrolled: 1-line block ×5, first 2 shown]
	v_add_f32_e32 v10, v20, v26
	v_fma_f32 v16, v17, 2.0, -v13
	v_fma_f32 v17, v50, 2.0, -v5
	v_sub_f32_e32 v21, v46, v7
	v_fma_f32 v18, v18, 2.0, -v26
	v_dual_sub_f32 v5, v13, v5 :: v_dual_add_f32 v28, v32, v14
	s_delay_alu instid0(VALU_DEP_4)
	v_dual_sub_f32 v6, v15, v17 :: v_dual_sub_f32 v7, v16, v19
	v_fma_f32 v19, v45, 2.0, -v20
	v_fma_f32 v17, v22, 2.0, -v23
	;; [unrolled: 1-line block ×3, first 2 shown]
	v_sub_f32_e32 v29, v27, v35
	v_fma_f32 v34, v46, 2.0, -v21
	v_fma_f32 v9, v13, 2.0, -v5
	;; [unrolled: 1-line block ×6, first 2 shown]
	v_sub_f32_e32 v14, v19, v17
	v_fma_f32 v8, v11, 2.0, -v4
	s_delay_alu instid0(VALU_DEP_4)
	v_dual_sub_f32 v11, v21, v23 :: v_dual_sub_f32 v30, v22, v26
	v_fma_f32 v23, v44, 2.0, -v33
	v_fma_f32 v12, v15, 2.0, -v6
	v_sub_f32_e32 v15, v34, v18
	v_sub_f32_e32 v29, v33, v29
	v_fma_f32 v17, v21, 2.0, -v11
	v_sub_f32_e32 v31, v23, v27
	v_fma_f32 v18, v19, 2.0, -v14
	v_fma_f32 v19, v34, 2.0, -v15
	;; [unrolled: 1-line block ×6, first 2 shown]
	ds_store_2addr_b64 v51, v[6:7], v[4:5] offset0:144 offset1:216
	ds_store_2addr_b64 v51, v[12:13], v[8:9] offset1:72
	ds_store_2addr_b64 v53, v[14:15], v[10:11] offset0:144 offset1:216
	ds_store_2addr_b64 v53, v[18:19], v[16:17] offset1:72
	ds_store_2addr_b64 v49, v[26:27], v[32:33] offset1:72
	ds_store_2addr_b64 v49, v[30:31], v[28:29] offset0:144 offset1:216
	global_wb scope:SCOPE_SE
	s_wait_dscnt 0x0
	s_barrier_signal -1
	s_barrier_wait -1
	global_inv scope:SCOPE_SE
	ds_load_2addr_stride64_b64 v[12:15], v54 offset0:4 offset1:13
	ds_load_b64 v[80:81], v2
	ds_load_b64 v[50:51], v2 offset:9216
	ds_load_b64 v[48:49], v2 offset:11520
	;; [unrolled: 1-line block ×3, first 2 shown]
	ds_load_b64 v[52:53], v52
	ds_load_b64 v[44:45], v2 offset:16128
                                        ; implicit-def: $vgpr39
                                        ; implicit-def: $vgpr41
                                        ; implicit-def: $vgpr35
                                        ; implicit-def: $vgpr37
	s_and_saveexec_b32 s17, s2
	s_cbranch_execz .LBB0_12
; %bb.11:
	ds_load_b64 v[32:33], v2 offset:3840
	ds_load_b64 v[30:31], v2 offset:6144
	;; [unrolled: 1-line block ×6, first 2 shown]
	ds_load_b64 v[26:27], v3
	ds_load_b64 v[36:37], v2 offset:17664
.LBB0_12:
	s_wait_alu 0xfffe
	s_or_b32 exec_lo, exec_lo, s17
	v_mul_lo_u16 v0, v98, 22
	s_load_b64 s[0:1], s[0:1], 0x8
	s_and_not1_b32 vcc_lo, exec_lo, s3
	s_delay_alu instid0(VALU_DEP_1) | instskip(NEXT) | instid1(VALU_DEP_1)
	v_lshrrev_b16 v0, 8, v0
	v_mul_lo_u16 v0, v0, 12
	s_delay_alu instid0(VALU_DEP_1) | instskip(NEXT) | instid1(VALU_DEP_1)
	v_sub_nc_u16 v0, v98, v0
	v_and_b32_e32 v102, 0xff, v0
	s_delay_alu instid0(VALU_DEP_1) | instskip(NEXT) | instid1(VALU_DEP_1)
	v_mul_u32_u24_e32 v0, 7, v102
	v_lshlrev_b32_e32 v0, 3, v0
	s_clause 0x1
	global_load_b128 v[20:23], v0, s[14:15] offset:72
	global_load_b128 v[16:19], v0, s[14:15] offset:88
	s_wait_loadcnt_dscnt 0x101
	v_mul_f32_e32 v131, v23, v53
	s_wait_loadcnt 0x0
	v_mul_f32_e32 v135, v17, v15
	s_clause 0x1
	global_load_b64 v[54:55], v0, s[14:15] offset:120
	global_load_b128 v[58:61], v0, s[14:15] offset:104
	v_mul_lo_u32 v2, v24, v102
	v_dual_mul_f32 v132, v21, v13 :: v_dual_add_nc_u32 v107, 12, v102
	v_dual_mul_f32 v23, v23, v52 :: v_dual_add_nc_u32 v106, 24, v102
	v_or_b32_e32 v3, 48, v102
	s_delay_alu instid0(VALU_DEP_3) | instskip(NEXT) | instid1(VALU_DEP_4)
	v_mul_lo_u32 v0, v24, v107
	v_dual_fmac_f32 v132, v20, v12 :: v_dual_add_nc_u32 v105, 36, v102
	s_delay_alu instid0(VALU_DEP_4) | instskip(NEXT) | instid1(VALU_DEP_4)
	v_mul_lo_u32 v4, v24, v106
	v_mul_lo_u32 v70, v24, v3
	v_and_b32_e32 v3, 0xff, v2
	v_lshrrev_b32_e32 v6, 5, v2
	v_dual_mul_f32 v21, v21, v12 :: v_dual_add_nc_u32 v104, 60, v102
	v_and_b32_e32 v7, 0xff, v0
	v_lshrrev_b32_e32 v8, 5, v0
	v_and_b32_e32 v9, 0xff, v4
	v_dual_mul_f32 v137, v19, v51 :: v_dual_and_b32 v6, 0x7f8, v6
	v_lshrrev_b32_e32 v10, 5, v4
	v_mul_lo_u32 v5, v24, v105
	v_add_nc_u32_e32 v103, 0x48, v102
	v_dual_fmac_f32 v131, v22, v52 :: v_dual_add_nc_u32 v108, 0x54, v102
	v_mul_lo_u32 v71, v24, v104
	v_and_b32_e32 v56, 0xff, v70
	s_delay_alu instid0(VALU_DEP_4) | instskip(NEXT) | instid1(VALU_DEP_4)
	v_mul_lo_u32 v115, v24, v103
	v_mul_lo_u32 v116, v24, v108
	v_lshrrev_b32_e32 v43, 5, v5
	v_lshrrev_b32_e32 v2, 13, v2
	v_lshrrev_b32_e32 v0, 13, v0
	v_fma_f32 v133, v22, v53, -v23
	v_lshrrev_b32_e32 v53, 13, v70
	v_fma_f32 v134, v20, v13, -v21
	v_mul_f32_e32 v12, v17, v14
	v_fmac_f32_e32 v135, v16, v14
	v_fmac_f32_e32 v137, v18, v50
	s_delay_alu instid0(VALU_DEP_3) | instskip(SKIP_1) | instid1(VALU_DEP_1)
	v_fma_f32 v136, v16, v15, -v12
	v_mul_f32_e32 v12, v19, v50
	v_fma_f32 v138, v18, v51, -v12
	s_wait_loadcnt_dscnt 0x100
	v_mul_f32_e32 v152, v55, v45
	s_wait_loadcnt 0x0
	v_dual_mul_f32 v145, v59, v49 :: v_dual_mul_f32 v150, v61, v47
	v_lshlrev_b32_e32 v3, 3, v3
	s_wait_kmcnt 0x0
	s_clause 0x1
	global_load_b64 v[62:63], v3, s[0:1]
	global_load_b64 v[64:65], v6, s[0:1] offset:2048
	v_lshlrev_b32_e32 v3, 3, v7
	v_and_b32_e32 v6, 0x7f8, v8
	v_lshlrev_b32_e32 v8, 3, v9
	v_dual_fmac_f32 v152, v54, v44 :: v_dual_and_b32 v9, 0x7f8, v10
	s_clause 0x3
	global_load_b64 v[66:67], v3, s[0:1]
	global_load_b64 v[68:69], v6, s[0:1] offset:2048
	global_load_b64 v[72:73], v8, s[0:1]
	global_load_b64 v[74:75], v9, s[0:1] offset:2048
	v_dual_fmac_f32 v150, v60, v46 :: v_dual_and_b32 v11, 0xff, v5
	v_lshrrev_b32_e32 v7, 5, v70
	v_and_b32_e32 v9, 0x7f8, v43
	v_and_b32_e32 v3, 0xff, v71
	s_delay_alu instid0(VALU_DEP_4)
	v_dual_fmac_f32 v145, v58, v48 :: v_dual_lshlrev_b32 v8, 3, v11
	v_lshlrev_b32_e32 v11, 3, v56
	v_lshrrev_b32_e32 v6, 5, v71
	v_and_b32_e32 v7, 0x7f8, v7
	v_and_b32_e32 v10, 0xff, v115
	s_clause 0x1
	global_load_b64 v[76:77], v8, s[0:1]
	global_load_b64 v[78:79], v9, s[0:1] offset:2048
	v_lshrrev_b32_e32 v8, 5, v115
	v_and_b32_e32 v9, 0xff, v116
	s_clause 0x1
	global_load_b64 v[84:85], v11, s[0:1]
	global_load_b64 v[86:87], v7, s[0:1] offset:2048
	v_lshrrev_b32_e32 v7, 5, v116
	v_lshlrev_b32_e32 v3, 3, v3
	v_and_b32_e32 v6, 0x7f8, v6
	v_lshlrev_b32_e32 v10, 3, v10
	v_and_b32_e32 v8, 0x7f8, v8
	v_lshlrev_b32_e32 v9, 3, v9
	s_clause 0x1
	global_load_b64 v[88:89], v3, s[0:1]
	global_load_b64 v[90:91], v6, s[0:1] offset:2048
	v_and_b32_e32 v3, 0x7f8, v7
	v_and_b32_e32 v2, 0x7f8, v2
	;; [unrolled: 1-line block ×3, first 2 shown]
	v_lshrrev_b32_e32 v70, 13, v71
	v_lshrrev_b32_e32 v71, 13, v115
	;; [unrolled: 1-line block ×3, first 2 shown]
	s_wait_loadcnt 0x6
	v_mul_f32_e32 v155, v72, v75
	s_clause 0x3
	global_load_b64 v[92:93], v10, s[0:1]
	global_load_b64 v[94:95], v8, s[0:1] offset:2048
	global_load_b64 v[96:97], v9, s[0:1]
	global_load_b64 v[109:110], v3, s[0:1] offset:2048
	v_lshrrev_b32_e32 v3, 13, v4
	v_lshrrev_b32_e32 v4, 13, v5
	global_load_b64 v[111:112], v2, s[0:1] offset:4096
	v_fmac_f32_e32 v155, v73, v74
	v_and_b32_e32 v3, 0x7f8, v3
	v_and_b32_e32 v2, 0x7f8, v4
	s_clause 0x2
	global_load_b64 v[113:114], v0, s[0:1] offset:4096
	global_load_b64 v[82:83], v2, s[0:1] offset:4096
	;; [unrolled: 1-line block ×3, first 2 shown]
	v_lshrrev_b16 v0, 11, v1
	s_delay_alu instid0(VALU_DEP_1) | instskip(NEXT) | instid1(VALU_DEP_1)
	v_mul_lo_u16 v0, v0, 12
	v_sub_nc_u16 v0, v42, v0
	s_delay_alu instid0(VALU_DEP_1) | instskip(NEXT) | instid1(VALU_DEP_1)
	v_and_b32_e32 v0, 0xff, v0
	v_add_nc_u32_e32 v8, 0x48, v0
	v_mul_u32_u24_e32 v1, 7, v0
	v_mul_lo_u32 v2, v24, v0
	v_add_nc_u32_e32 v3, 12, v0
	v_add_nc_u32_e32 v4, 24, v0
	v_mul_lo_u32 v122, v24, v8
	v_add_nc_u32_e32 v5, 36, v0
	v_or_b32_e32 v6, 48, v0
	v_add_nc_u32_e32 v7, 60, v0
	v_add_nc_u32_e32 v0, 0x54, v0
	v_lshlrev_b32_e32 v9, 3, v1
	v_mul_lo_u32 v117, v24, v3
	v_mul_lo_u32 v120, v24, v6
	v_lshrrev_b32_e32 v18, 5, v122
	v_mul_lo_u32 v123, v24, v0
	v_lshrrev_b32_e32 v19, 13, v122
	v_mul_lo_u32 v118, v24, v4
	v_mul_lo_u32 v119, v24, v5
	v_and_b32_e32 v144, 0x7f8, v18
	v_mul_f32_e32 v18, v59, v48
	v_and_b32_e32 v146, 0x7f8, v19
	v_and_b32_e32 v19, 0x7f8, v53
	v_mul_lo_u32 v121, v24, v7
	v_and_b32_e32 v124, 0xff, v2
	v_fma_f32 v149, v58, v49, -v18
	v_and_b32_e32 v21, 0xff, v123
	v_lshrrev_b32_e32 v125, 5, v2
	v_lshrrev_b32_e32 v126, 13, v2
	s_clause 0x3
	global_load_b64 v[42:43], v9, s[14:15] offset:120
	global_load_b128 v[0:3], v9, s[14:15] offset:104
	global_load_b128 v[4:7], v9, s[14:15] offset:88
	;; [unrolled: 1-line block ×3, first 2 shown]
	v_lshrrev_b32_e32 v20, 13, v120
	v_lshlrev_b32_e32 v147, 3, v21
	v_and_b32_e32 v21, 0x7f8, v115
	global_load_b64 v[115:116], v19, s[0:1] offset:4096
	v_dual_mul_f32 v19, v55, v44 :: v_dual_mul_f32 v18, v61, v46
	v_and_b32_e32 v127, 0xff, v117
	v_lshrrev_b32_e32 v128, 5, v117
	v_lshrrev_b32_e32 v117, 13, v117
	s_delay_alu instid0(VALU_DEP_4)
	v_fma_f32 v153, v54, v45, -v19
	s_wait_loadcnt 0xd
	v_mul_f32_e32 v45, v89, v91
	v_mul_f32_e32 v91, v88, v91
	v_lshrrev_b32_e32 v130, 5, v118
	v_and_b32_e32 v14, 0xff, v121
	v_fma_f32 v151, v60, v47, -v18
	v_and_b32_e32 v129, 0xff, v118
	v_lshrrev_b32_e32 v118, 13, v118
	v_mul_f32_e32 v44, v85, v87
	v_mul_f32_e32 v87, v84, v87
	v_fmac_f32_e32 v91, v89, v90
	v_and_b32_e32 v143, 0x7f8, v20
	v_and_b32_e32 v20, 0x7f8, v70
	s_delay_alu instid0(VALU_DEP_4)
	v_dual_fmac_f32 v87, v85, v86 :: v_dual_and_b32 v22, 0xff, v119
	v_lshrrev_b32_e32 v23, 5, v119
	v_lshrrev_b32_e32 v52, 13, v119
	v_and_b32_e32 v13, 0xff, v120
	v_lshrrev_b32_e32 v17, 5, v120
	v_lshrrev_b32_e32 v15, 5, v121
	;; [unrolled: 1-line block ×3, first 2 shown]
	v_and_b32_e32 v12, 0xff, v122
	v_lshrrev_b32_e32 v50, 5, v123
	v_lshrrev_b32_e32 v51, 13, v123
	v_lshlrev_b32_e32 v123, 3, v127
	v_and_b32_e32 v127, 0x7f8, v128
	v_dual_mul_f32 v60, v62, v65 :: v_dual_and_b32 v139, 0x7f8, v118
	v_fma_f32 v84, v84, v86, -v44
	v_mul_f32_e32 v19, v73, v75
	v_fma_f32 v88, v88, v90, -v45
	v_and_b32_e32 v130, 0x7f8, v130
	v_dual_fmac_f32 v60, v63, v64 :: v_dual_and_b32 v17, 0x7f8, v17
	v_and_b32_e32 v148, 0x7f8, v50
	v_and_b32_e32 v15, 0x7f8, v15
	s_wait_loadcnt 0xb
	v_mul_f32_e32 v54, v93, v95
	v_dual_mul_f32 v85, v92, v95 :: v_dual_and_b32 v128, 0x7f8, v117
	s_clause 0x1
	global_load_b64 v[117:118], v20, s[0:1] offset:4096
	global_load_b64 v[119:120], v21, s[0:1] offset:4096
	v_mul_f32_e32 v20, v63, v65
	v_fma_f32 v89, v92, v94, -v54
	v_dual_fmac_f32 v85, v93, v94 :: v_dual_and_b32 v18, 0x7f8, v71
	s_wait_loadcnt 0xb
	v_dual_mul_f32 v55, v97, v110 :: v_dual_lshlrev_b32 v124, 3, v124
	v_fma_f32 v61, v62, v64, -v20
	v_mul_f32_e32 v65, v66, v69
	global_load_b64 v[121:122], v18, s[0:1] offset:4096
	v_mul_f32_e32 v18, v67, v69
	v_mul_f32_e32 v86, v96, v110
	s_wait_loadcnt 0xb
	v_dual_mul_f32 v92, v61, v112 :: v_dual_and_b32 v125, 0x7f8, v125
	v_fmac_f32_e32 v65, v67, v68
	v_fma_f32 v64, v66, v68, -v18
	v_mul_f32_e32 v66, v60, v112
	s_delay_alu instid0(VALU_DEP_4)
	v_fmac_f32_e32 v92, v111, v60
	v_and_b32_e32 v16, 0x7f8, v16
	s_wait_loadcnt 0xa
	v_dual_mul_f32 v18, v77, v79 :: v_dual_mul_f32 v95, v64, v114
	v_fma_f32 v90, v96, v109, -v55
	v_fmac_f32_e32 v86, v97, v109
	v_fma_f32 v93, v111, v61, -v66
	v_dual_sub_f32 v109, v80, v137 :: v_dual_lshlrev_b32 v12, 3, v12
	v_sub_f32_e32 v111, v131, v150
	v_sub_f32_e32 v110, v81, v138
	;; [unrolled: 1-line block ×3, first 2 shown]
	v_dual_fmac_f32 v95, v113, v65 :: v_dual_and_b32 v126, 0x7f8, v126
	v_lshlrev_b32_e32 v129, 3, v129
	v_lshlrev_b32_e32 v140, 3, v22
	s_clause 0x3
	global_load_b64 v[68:69], v124, s[0:1]
	global_load_b64 v[70:71], v125, s[0:1] offset:2048
	global_load_b64 v[58:59], v126, s[0:1] offset:4096
	global_load_b64 v[20:21], v123, s[0:1]
	v_mul_f32_e32 v123, v76, v79
	v_fma_f32 v124, v72, v74, -v19
	v_fma_f32 v125, v76, v78, -v18
	v_dual_sub_f32 v126, v136, v153 :: v_dual_and_b32 v141, 0x7f8, v23
	s_clause 0x3
	global_load_b64 v[48:49], v127, s[0:1] offset:2048
	global_load_b64 v[18:19], v128, s[0:1] offset:4096
	global_load_b64 v[22:23], v129, s[0:1]
	global_load_b64 v[46:47], v130, s[0:1] offset:2048
	v_fma_f32 v80, v80, 2.0, -v109
	v_fma_f32 v81, v81, 2.0, -v110
	;; [unrolled: 1-line block ×4, first 2 shown]
	v_lshlrev_b32_e32 v13, 3, v13
	v_and_b32_e32 v142, 0x7f8, v52
	s_delay_alu instid0(VALU_DEP_4)
	v_dual_sub_f32 v127, v80, v127 :: v_dual_lshlrev_b32 v14, 3, v14
	v_dual_fmac_f32 v123, v77, v78 :: v_dual_and_b32 v154, 0x7f8, v51
	v_sub_f32_e32 v111, v110, v111
	s_clause 0x3
	global_load_b64 v[74:75], v139, s[0:1] offset:4096
	global_load_b64 v[50:51], v140, s[0:1]
	global_load_b64 v[52:53], v141, s[0:1] offset:2048
	global_load_b64 v[44:45], v142, s[0:1] offset:4096
	v_sub_f32_e32 v128, v81, v128
	s_clause 0x3
	global_load_b64 v[72:73], v13, s[0:1]
	global_load_b64 v[76:77], v17, s[0:1] offset:2048
	global_load_b64 v[62:63], v143, s[0:1] offset:4096
	global_load_b64 v[54:55], v14, s[0:1]
	s_wait_loadcnt 0x18
	v_dual_mul_f32 v13, v65, v114 :: v_dual_mul_f32 v14, v155, v57
	v_mul_f32_e32 v94, v124, v57
	v_dual_sub_f32 v114, v134, v149 :: v_dual_mul_f32 v133, v123, v83
	s_delay_alu instid0(VALU_DEP_3) | instskip(NEXT) | instid1(VALU_DEP_4)
	v_fma_f32 v96, v113, v64, -v13
	v_fma_f32 v97, v56, v124, -v14
	v_dual_sub_f32 v113, v132, v145 :: v_dual_sub_f32 v124, v135, v152
	s_delay_alu instid0(VALU_DEP_4) | instskip(SKIP_2) | instid1(VALU_DEP_4)
	v_fma_f32 v130, v134, 2.0, -v114
	v_mul_f32_e32 v83, v125, v83
	v_fma_f32 v125, v82, v125, -v133
	v_fma_f32 v129, v132, 2.0, -v113
	v_fma_f32 v131, v135, 2.0, -v124
	;; [unrolled: 1-line block ×3, first 2 shown]
	s_wait_loadcnt 0x13
	v_dual_fmac_f32 v83, v82, v123 :: v_dual_mul_f32 v82, v87, v116
	s_delay_alu instid0(VALU_DEP_3) | instskip(NEXT) | instid1(VALU_DEP_3)
	v_dual_mul_f32 v116, v84, v116 :: v_dual_sub_f32 v131, v129, v131
	v_sub_f32_e32 v132, v130, v132
	s_clause 0x3
	global_load_b64 v[78:79], v15, s[0:1] offset:2048
	global_load_b64 v[60:61], v16, s[0:1] offset:4096
	global_load_b64 v[64:65], v12, s[0:1]
	global_load_b64 v[66:67], v144, s[0:1] offset:2048
	v_fmac_f32_e32 v94, v56, v155
	v_fma_f32 v134, v115, v84, -v82
	v_fmac_f32_e32 v116, v115, v87
	v_add_f32_e32 v112, v109, v112
	v_add_f32_e32 v126, v113, v126
	v_sub_f32_e32 v124, v114, v124
	v_fma_f32 v110, v110, 2.0, -v111
	v_fma_f32 v81, v81, 2.0, -v128
	;; [unrolled: 1-line block ×3, first 2 shown]
	v_fmamk_f32 v133, v126, 0x3f3504f3, v112
	v_fmamk_f32 v123, v124, 0x3f3504f3, v111
	v_fma_f32 v113, v113, 2.0, -v126
	v_fma_f32 v114, v114, 2.0, -v124
	s_wait_loadcnt 0x16
	v_mul_f32_e32 v87, v88, v118
	v_mul_f32_e32 v82, v91, v118
	s_wait_loadcnt 0x15
	v_dual_mul_f32 v118, v86, v120 :: v_dual_fmac_f32 v123, 0xbf3504f3, v126
	v_mul_f32_e32 v120, v90, v120
	v_fma_f32 v126, v130, 2.0, -v132
	v_fma_f32 v130, v80, 2.0, -v127
	s_delay_alu instid0(VALU_DEP_4)
	v_fma_f32 v118, v119, v90, -v118
	v_fma_f32 v111, v111, 2.0, -v123
	v_fmac_f32_e32 v120, v119, v86
	s_wait_loadcnt 0x14
	v_mul_f32_e32 v84, v85, v122
	v_mul_f32_e32 v115, v89, v122
	v_fma_f32 v122, v129, 2.0, -v131
	v_add_f32_e32 v129, v127, v132
	s_clause 0x3
	global_load_b64 v[56:57], v146, s[0:1] offset:4096
	global_load_b64 v[14:15], v147, s[0:1]
	global_load_b64 v[16:17], v148, s[0:1] offset:2048
	global_load_b64 v[12:13], v154, s[0:1] offset:4096
	v_fmamk_f32 v132, v113, 0xbf3504f3, v109
	v_dual_fmac_f32 v133, 0x3f3504f3, v124 :: v_dual_sub_f32 v124, v128, v131
	v_fma_f32 v131, v117, v88, -v82
	v_dual_fmac_f32 v87, v117, v91 :: v_dual_mul_f32 v82, v123, v120
	v_fmamk_f32 v117, v114, 0xbf3504f3, v110
	s_delay_alu instid0(VALU_DEP_4)
	v_fma_f32 v91, v128, 2.0, -v124
	v_fmac_f32_e32 v115, v121, v85
	v_fma_f32 v85, v127, 2.0, -v129
	v_fmac_f32_e32 v132, 0x3f3504f3, v114
	v_fma_f32 v112, v112, 2.0, -v133
	v_mul_f32_e32 v90, v91, v94
	v_dual_sub_f32 v119, v130, v122 :: v_dual_mul_f32 v80, v124, v115
	v_dual_sub_f32 v114, v81, v126 :: v_dual_fmac_f32 v117, 0xbf3504f3, v113
	v_fma_f32 v89, v121, v89, -v84
	v_mul_f32_e32 v113, v129, v115
	v_mul_f32_e32 v115, v133, v120
	v_dual_mul_f32 v120, v85, v94 :: v_dual_mul_f32 v121, v119, v116
	v_mul_f32_e32 v94, v112, v83
	v_mul_f32_e32 v88, v111, v83
	v_fma_f32 v83, v130, 2.0, -v119
	v_fma_f32 v122, v81, 2.0, -v114
	;; [unrolled: 1-line block ×4, first 2 shown]
	v_mul_f32_e32 v86, v114, v116
	v_mul_f32_e32 v84, v117, v87
	;; [unrolled: 1-line block ×3, first 2 shown]
	v_fmac_f32_e32 v80, v129, v89
	v_fma_f32 v81, v124, v89, -v113
	v_fma_f32 v91, v91, v97, -v120
	v_dual_fmac_f32 v90, v85, v97 :: v_dual_mul_f32 v97, v83, v92
	v_fma_f32 v89, v111, v125, -v94
	v_dual_fmac_f32 v88, v112, v125 :: v_dual_mul_f32 v111, v109, v95
	v_mul_f32_e32 v94, v122, v92
	v_mul_f32_e32 v92, v110, v95
	v_fmac_f32_e32 v82, v133, v118
	v_fma_f32 v87, v114, v134, -v121
	v_fmac_f32_e32 v86, v119, v134
	v_fmac_f32_e32 v84, v132, v131
	v_fma_f32 v85, v117, v131, -v116
	v_fma_f32 v95, v122, v93, -v97
	v_fmac_f32_e32 v94, v83, v93
	v_fma_f32 v93, v110, v96, -v111
	v_fmac_f32_e32 v92, v109, v96
	v_fma_f32 v83, v123, v118, -v115
	s_wait_alu 0xfffe
	s_cbranch_vccnz .LBB0_14
; %bb.13:
	v_mad_co_u64_u32 v[96:97], null, s4, v101, 0
	v_mad_co_u64_u32 v[111:112], null, s8, v107, 0
	;; [unrolled: 1-line block ×3, first 2 shown]
	s_lshl_b64 s[0:1], s[6:7], 3
	s_and_b32 s16, s2, exec_lo
	s_delay_alu instid0(VALU_DEP_3) | instskip(SKIP_1) | instid1(VALU_DEP_4)
	v_mad_co_u64_u32 v[113:114], null, s5, v101, v[97:98]
	v_mad_co_u64_u32 v[114:115], null, s8, v106, 0
	v_mov_b32_e32 v97, v112
	s_delay_alu instid0(VALU_DEP_4) | instskip(SKIP_1) | instid1(VALU_DEP_3)
	v_mad_co_u64_u32 v[116:117], null, s9, v102, v[110:111]
	s_add_nc_u64 s[0:1], s[12:13], s[0:1]
	v_mov_b32_e32 v112, v115
	s_delay_alu instid0(VALU_DEP_3) | instskip(NEXT) | instid1(VALU_DEP_3)
	v_mad_co_u64_u32 v[117:118], null, s9, v107, v[97:98]
	v_dual_mov_b32 v97, v113 :: v_dual_mov_b32 v110, v116
	v_mad_co_u64_u32 v[118:119], null, s8, v105, 0
	s_delay_alu instid0(VALU_DEP_4) | instskip(NEXT) | instid1(VALU_DEP_3)
	v_mad_co_u64_u32 v[115:116], null, s9, v106, v[112:113]
	v_lshlrev_b64_e32 v[96:97], 3, v[96:97]
	s_delay_alu instid0(VALU_DEP_4) | instskip(NEXT) | instid1(VALU_DEP_4)
	v_lshlrev_b64_e32 v[109:110], 3, v[109:110]
	v_dual_mov_b32 v112, v117 :: v_dual_mov_b32 v113, v119
	s_delay_alu instid0(VALU_DEP_3) | instskip(SKIP_1) | instid1(VALU_DEP_4)
	v_add_co_u32 v96, vcc_lo, s0, v96
	s_wait_alu 0xfffd
	v_add_co_ci_u32_e32 v97, vcc_lo, s1, v97, vcc_lo
	s_delay_alu instid0(VALU_DEP_3) | instskip(NEXT) | instid1(VALU_DEP_3)
	v_lshlrev_b64_e32 v[111:112], 3, v[111:112]
	v_add_co_u32 v109, vcc_lo, v96, v109
	s_wait_alu 0xfffd
	s_delay_alu instid0(VALU_DEP_3) | instskip(SKIP_1) | instid1(VALU_DEP_4)
	v_add_co_ci_u32_e32 v110, vcc_lo, v97, v110, vcc_lo
	v_mad_co_u64_u32 v[116:117], null, s9, v105, v[113:114]
	v_add_co_u32 v111, vcc_lo, v96, v111
	global_store_b64 v[109:110], v[94:95], off
	v_lshlrev_b64_e32 v[109:110], 3, v[114:115]
	s_wait_alu 0xfffd
	v_add_co_ci_u32_e32 v112, vcc_lo, v97, v112, vcc_lo
	v_mov_b32_e32 v119, v116
	v_mad_co_u64_u32 v[115:116], null, s8, v104, 0
	s_delay_alu instid0(VALU_DEP_4)
	v_add_co_u32 v109, vcc_lo, v96, v109
	v_add_nc_u32_e32 v117, 48, v102
	s_wait_alu 0xfffd
	v_add_co_ci_u32_e32 v110, vcc_lo, v97, v110, vcc_lo
	global_store_b64 v[111:112], v[92:93], off
	global_store_b64 v[109:110], v[90:91], off
	v_mov_b32_e32 v110, v116
	v_mad_co_u64_u32 v[111:112], null, s8, v117, 0
	s_delay_alu instid0(VALU_DEP_1) | instskip(NEXT) | instid1(VALU_DEP_1)
	v_mov_b32_e32 v109, v112
	v_mad_co_u64_u32 v[116:117], null, s9, v117, v[109:110]
	s_delay_alu instid0(VALU_DEP_3) | instskip(NEXT) | instid1(VALU_DEP_2)
	v_mad_co_u64_u32 v[109:110], null, s9, v104, v[110:111]
	v_mov_b32_e32 v112, v116
	v_lshlrev_b64_e32 v[113:114], 3, v[118:119]
	v_mad_co_u64_u32 v[117:118], null, s8, v103, 0
	v_mad_co_u64_u32 v[119:120], null, s8, v108, 0
	s_delay_alu instid0(VALU_DEP_4) | instskip(NEXT) | instid1(VALU_DEP_4)
	v_lshlrev_b64_e32 v[111:112], 3, v[111:112]
	v_add_co_u32 v113, vcc_lo, v96, v113
	s_wait_alu 0xfffd
	v_add_co_ci_u32_e32 v114, vcc_lo, v97, v114, vcc_lo
	v_mov_b32_e32 v110, v118
	v_dual_mov_b32 v116, v109 :: v_dual_mov_b32 v109, v120
	global_store_b64 v[113:114], v[88:89], off
	v_mad_co_u64_u32 v[113:114], null, s9, v103, v[110:111]
	v_lshlrev_b64_e32 v[114:115], 3, v[115:116]
	v_mad_co_u64_u32 v[109:110], null, s9, v108, v[109:110]
	v_add_co_u32 v110, vcc_lo, v96, v111
	s_wait_alu 0xfffd
	v_add_co_ci_u32_e32 v111, vcc_lo, v97, v112, vcc_lo
	v_mov_b32_e32 v118, v113
	v_add_co_u32 v112, vcc_lo, v96, v114
	s_wait_alu 0xfffd
	v_add_co_ci_u32_e32 v113, vcc_lo, v97, v115, vcc_lo
	v_mov_b32_e32 v120, v109
	global_store_b64 v[110:111], v[86:87], off
	v_lshlrev_b64_e32 v[109:110], 3, v[117:118]
	global_store_b64 v[112:113], v[84:85], off
	v_lshlrev_b64_e32 v[111:112], 3, v[119:120]
	v_add_co_u32 v109, vcc_lo, v96, v109
	s_wait_alu 0xfffd
	v_add_co_ci_u32_e32 v110, vcc_lo, v97, v110, vcc_lo
	s_delay_alu instid0(VALU_DEP_3)
	v_add_co_u32 v111, vcc_lo, v96, v111
	s_wait_alu 0xfffd
	v_add_co_ci_u32_e32 v112, vcc_lo, v97, v112, vcc_lo
	s_clause 0x1
	global_store_b64 v[109:110], v[80:81], off
	global_store_b64 v[111:112], v[82:83], off
	s_cbranch_execz .LBB0_15
	s_branch .LBB0_18
.LBB0_14:
                                        ; implicit-def: $vgpr96_vgpr97
.LBB0_15:
	s_mov_b32 s0, exec_lo
                                        ; implicit-def: $vgpr96_vgpr97
	v_cmpx_gt_u64_e64 s[10:11], v[24:25]
	s_cbranch_execz .LBB0_17
; %bb.16:
	v_mad_co_u64_u32 v[24:25], null, s4, v101, 0
	v_mad_co_u64_u32 v[109:110], null, s8, v107, 0
	v_mad_co_u64_u32 v[96:97], null, s8, v102, 0
	s_lshl_b64 s[6:7], s[6:7], 3
	s_wait_alu 0xfffe
	s_and_not1_b32 s1, s16, exec_lo
	s_delay_alu instid0(VALU_DEP_3) | instskip(NEXT) | instid1(VALU_DEP_3)
	v_mad_co_u64_u32 v[111:112], null, s5, v101, v[25:26]
	v_mov_b32_e32 v25, v110
	v_mad_co_u64_u32 v[112:113], null, s8, v106, 0
	s_delay_alu instid0(VALU_DEP_4) | instskip(NEXT) | instid1(VALU_DEP_3)
	v_mad_co_u64_u32 v[114:115], null, s9, v102, v[97:98]
	v_mad_co_u64_u32 v[115:116], null, s9, v107, v[25:26]
	v_mov_b32_e32 v25, v111
	v_mad_co_u64_u32 v[116:117], null, s8, v105, 0
	v_mov_b32_e32 v101, v113
	v_mov_b32_e32 v97, v114
	s_delay_alu instid0(VALU_DEP_4)
	v_lshlrev_b64_e32 v[24:25], 3, v[24:25]
	s_add_nc_u64 s[4:5], s[12:13], s[6:7]
	v_mov_b32_e32 v110, v115
	v_mad_co_u64_u32 v[106:107], null, s9, v106, v[101:102]
	v_lshlrev_b64_e32 v[113:114], 3, v[96:97]
	s_wait_alu 0xfffe
	v_add_co_u32 v96, vcc_lo, s4, v24
	s_wait_alu 0xfffd
	v_add_co_ci_u32_e32 v97, vcc_lo, s5, v25, vcc_lo
	v_mov_b32_e32 v101, v117
	v_lshlrev_b64_e32 v[24:25], 3, v[109:110]
	v_add_co_u32 v109, vcc_lo, v96, v113
	s_wait_alu 0xfffd
	v_add_co_ci_u32_e32 v110, vcc_lo, v97, v114, vcc_lo
	v_mov_b32_e32 v113, v106
	v_mad_co_u64_u32 v[105:106], null, s9, v105, v[101:102]
	v_add_co_u32 v24, vcc_lo, v96, v24
	global_store_b64 v[109:110], v[94:95], off
	v_lshlrev_b64_e32 v[94:95], 3, v[112:113]
	s_wait_alu 0xfffd
	v_add_co_ci_u32_e32 v25, vcc_lo, v97, v25, vcc_lo
	v_dual_mov_b32 v117, v105 :: v_dual_add_nc_u32 v106, 48, v102
	v_mad_co_u64_u32 v[101:102], null, s8, v104, 0
	global_store_b64 v[24:25], v[92:93], off
	v_mad_co_u64_u32 v[24:25], null, s8, v106, 0
	v_add_co_u32 v92, vcc_lo, v96, v94
	s_wait_alu 0xfffd
	v_add_co_ci_u32_e32 v93, vcc_lo, v97, v95, vcc_lo
	v_lshlrev_b64_e32 v[94:95], 3, v[116:117]
	s_and_b32 s2, s2, exec_lo
	global_store_b64 v[92:93], v[90:91], off
	v_mov_b32_e32 v92, v102
	s_wait_alu 0xfffe
	s_or_b32 s16, s1, s2
	v_add_co_u32 v90, vcc_lo, v96, v94
	v_mad_co_u64_u32 v[93:94], null, s9, v106, v[25:26]
	s_wait_alu 0xfffd
	v_add_co_ci_u32_e32 v91, vcc_lo, v97, v95, vcc_lo
	v_mad_co_u64_u32 v[94:95], null, s8, v103, 0
	global_store_b64 v[90:91], v[88:89], off
	v_mad_co_u64_u32 v[104:105], null, s9, v104, v[92:93]
	v_mad_co_u64_u32 v[105:106], null, s8, v108, 0
	v_dual_mov_b32 v88, v95 :: v_dual_mov_b32 v25, v93
	s_delay_alu instid0(VALU_DEP_2) | instskip(NEXT) | instid1(VALU_DEP_2)
	v_dual_mov_b32 v102, v104 :: v_dual_mov_b32 v89, v106
	v_lshlrev_b64_e32 v[24:25], 3, v[24:25]
	s_delay_alu instid0(VALU_DEP_2) | instskip(NEXT) | instid1(VALU_DEP_3)
	v_mad_co_u64_u32 v[90:91], null, s9, v103, v[88:89]
	v_lshlrev_b64_e32 v[91:92], 3, v[101:102]
	s_delay_alu instid0(VALU_DEP_3) | instskip(SKIP_1) | instid1(VALU_DEP_4)
	v_add_co_u32 v24, vcc_lo, v96, v24
	s_wait_alu 0xfffd
	v_add_co_ci_u32_e32 v25, vcc_lo, v97, v25, vcc_lo
	s_delay_alu instid0(VALU_DEP_4)
	v_mad_co_u64_u32 v[88:89], null, s9, v108, v[89:90]
	v_mov_b32_e32 v95, v90
	v_add_co_u32 v89, vcc_lo, v96, v91
	s_wait_alu 0xfffd
	v_add_co_ci_u32_e32 v90, vcc_lo, v97, v92, vcc_lo
	global_store_b64 v[24:25], v[86:87], off
	v_mov_b32_e32 v106, v88
	v_lshlrev_b64_e32 v[24:25], 3, v[94:95]
	global_store_b64 v[89:90], v[84:85], off
	v_lshlrev_b64_e32 v[84:85], 3, v[105:106]
	v_add_co_u32 v24, vcc_lo, v96, v24
	s_wait_alu 0xfffd
	v_add_co_ci_u32_e32 v25, vcc_lo, v97, v25, vcc_lo
	s_delay_alu instid0(VALU_DEP_3)
	v_add_co_u32 v84, vcc_lo, v96, v84
	s_wait_alu 0xfffd
	v_add_co_ci_u32_e32 v85, vcc_lo, v97, v85, vcc_lo
	s_clause 0x1
	global_store_b64 v[24:25], v[80:81], off
	global_store_b64 v[84:85], v[82:83], off
.LBB0_17:
	s_wait_alu 0xfffe
	s_or_b32 exec_lo, exec_lo, s0
.LBB0_18:
	s_wait_alu 0xfffe
	s_and_saveexec_b32 s0, s16
	s_cbranch_execnz .LBB0_20
; %bb.19:
	s_nop 0
	s_sendmsg sendmsg(MSG_DEALLOC_VGPRS)
	s_endpgm
.LBB0_20:
	v_dual_mul_f32 v24, v33, v9 :: v_dual_mul_f32 v25, v31, v11
	v_mul_f32_e32 v9, v32, v9
	v_dual_mul_f32 v11, v30, v11 :: v_dual_mul_f32 v80, v29, v5
	s_delay_alu instid0(VALU_DEP_3) | instskip(NEXT) | instid1(VALU_DEP_3)
	v_dual_fmac_f32 v24, v32, v8 :: v_dual_fmac_f32 v25, v30, v10
	v_fma_f32 v8, v33, v8, -v9
	s_delay_alu instid0(VALU_DEP_3) | instskip(NEXT) | instid1(VALU_DEP_4)
	v_fma_f32 v9, v31, v10, -v11
	v_fmac_f32_e32 v80, v28, v4
	v_mul_f32_e32 v10, v39, v7
	v_mul_f32_e32 v7, v38, v7
	;; [unrolled: 1-line block ×3, first 2 shown]
	s_delay_alu instid0(VALU_DEP_3) | instskip(NEXT) | instid1(VALU_DEP_2)
	v_dual_mul_f32 v11, v41, v1 :: v_dual_fmac_f32 v10, v38, v6
	v_fma_f32 v4, v29, v4, -v5
	s_delay_alu instid0(VALU_DEP_4) | instskip(SKIP_1) | instid1(VALU_DEP_4)
	v_fma_f32 v5, v39, v6, -v7
	v_dual_mul_f32 v6, v35, v3 :: v_dual_mul_f32 v1, v40, v1
	v_dual_fmac_f32 v11, v40, v0 :: v_dual_sub_f32 v10, v26, v10
	s_delay_alu instid0(VALU_DEP_2) | instskip(NEXT) | instid1(VALU_DEP_3)
	v_dual_sub_f32 v5, v27, v5 :: v_dual_fmac_f32 v6, v34, v2
	v_fma_f32 v0, v41, v0, -v1
	v_mul_f32_e32 v1, v34, v3
	v_mul_f32_e32 v3, v37, v43
	s_delay_alu instid0(VALU_DEP_4) | instskip(NEXT) | instid1(VALU_DEP_4)
	v_sub_f32_e32 v6, v25, v6
	v_sub_f32_e32 v0, v8, v0
	v_mul_f32_e32 v7, v36, v43
	v_fma_f32 v1, v35, v2, -v1
	s_delay_alu instid0(VALU_DEP_4) | instskip(SKIP_1) | instid1(VALU_DEP_4)
	v_fma_f32 v25, v25, 2.0, -v6
	v_sub_f32_e32 v6, v5, v6
	v_fma_f32 v2, v37, v42, -v7
	v_fma_f32 v7, v26, 2.0, -v10
	v_fma_f32 v8, v8, 2.0, -v0
	s_delay_alu instid0(VALU_DEP_3) | instskip(SKIP_2) | instid1(VALU_DEP_3)
	v_sub_f32_e32 v2, v4, v2
	v_fma_f32 v26, v27, 2.0, -v5
	v_fma_f32 v5, v5, 2.0, -v6
	;; [unrolled: 1-line block ×3, first 2 shown]
	s_delay_alu instid0(VALU_DEP_1) | instskip(NEXT) | instid1(VALU_DEP_1)
	v_dual_sub_f32 v25, v7, v25 :: v_dual_sub_f32 v4, v8, v4
	v_fma_f32 v7, v7, 2.0, -v25
	v_sub_f32_e32 v11, v24, v11
	v_sub_f32_e32 v1, v9, v1
	s_delay_alu instid0(VALU_DEP_4) | instskip(NEXT) | instid1(VALU_DEP_3)
	v_fma_f32 v8, v8, 2.0, -v4
	v_add_f32_e32 v2, v11, v2
	s_delay_alu instid0(VALU_DEP_3) | instskip(SKIP_2) | instid1(VALU_DEP_4)
	v_fma_f32 v9, v9, 2.0, -v1
	v_add_f32_e32 v1, v10, v1
	v_fma_f32 v24, v24, 2.0, -v11
	v_fma_f32 v11, v11, 2.0, -v2
	s_delay_alu instid0(VALU_DEP_3) | instskip(NEXT) | instid1(VALU_DEP_1)
	v_fma_f32 v10, v10, 2.0, -v1
	v_dual_fmac_f32 v3, v36, v42 :: v_dual_fmamk_f32 v28, v11, 0xbf3504f3, v10
	v_sub_f32_e32 v9, v26, v9
	s_delay_alu instid0(VALU_DEP_1) | instskip(NEXT) | instid1(VALU_DEP_1)
	v_fma_f32 v26, v26, 2.0, -v9
	v_dual_sub_f32 v3, v80, v3 :: v_dual_sub_f32 v30, v26, v8
	s_delay_alu instid0(VALU_DEP_1) | instskip(SKIP_1) | instid1(VALU_DEP_3)
	v_fma_f32 v27, v80, 2.0, -v3
	v_sub_f32_e32 v3, v0, v3
	v_fma_f32 v8, v26, 2.0, -v30
	v_add_f32_e32 v26, v25, v4
	s_delay_alu instid0(VALU_DEP_3) | instskip(SKIP_1) | instid1(VALU_DEP_3)
	v_fma_f32 v0, v0, 2.0, -v3
	v_dual_sub_f32 v27, v24, v27 :: v_dual_fmamk_f32 v32, v3, 0x3f3504f3, v6
	v_fma_f32 v25, v25, 2.0, -v26
	s_delay_alu instid0(VALU_DEP_3) | instskip(NEXT) | instid1(VALU_DEP_3)
	v_fmamk_f32 v29, v0, 0xbf3504f3, v5
	v_fma_f32 v24, v24, 2.0, -v27
	v_fmac_f32_e32 v28, 0x3f3504f3, v0
	s_wait_loadcnt 0x16
	v_mul_f32_e32 v0, v69, v71
	v_dual_fmac_f32 v32, 0xbf3504f3, v2 :: v_dual_fmac_f32 v29, 0xbf3504f3, v11
	v_dual_mul_f32 v11, v68, v71 :: v_dual_sub_f32 v24, v7, v24
	s_delay_alu instid0(VALU_DEP_3) | instskip(SKIP_2) | instid1(VALU_DEP_3)
	v_fma_f32 v0, v68, v70, -v0
	s_wait_loadcnt 0x13
	v_dual_fmamk_f32 v31, v2, 0x3f3504f3, v1 :: v_dual_mul_f32 v2, v21, v49
	v_fmac_f32_e32 v11, v69, v70
	v_fma_f32 v7, v7, 2.0, -v24
	v_fma_f32 v5, v5, 2.0, -v29
	v_mul_f32_e32 v4, v0, v59
	v_fmac_f32_e32 v31, 0x3f3504f3, v3
	v_fma_f32 v33, v6, 2.0, -v32
	s_wait_loadcnt 0x10
	v_mul_f32_e32 v6, v23, v47
	v_mul_f32_e32 v3, v11, v59
	v_fmac_f32_e32 v4, v58, v11
	v_fma_f32 v11, v1, 2.0, -v31
	v_fma_f32 v2, v20, v48, -v2
	v_sub_f32_e32 v27, v9, v27
	v_fma_f32 v1, v58, v0, -v3
	v_mul_f32_e32 v0, v8, v4
	v_dual_mul_f32 v3, v20, v49 :: v_dual_mul_f32 v20, v22, v47
	v_fma_f32 v6, v22, v46, -v6
	v_fma_f32 v10, v10, 2.0, -v28
	s_delay_alu instid0(VALU_DEP_3) | instskip(NEXT) | instid1(VALU_DEP_4)
	v_dual_fmac_f32 v0, v7, v1 :: v_dual_fmac_f32 v3, v21, v48
	v_dual_fmac_f32 v20, v23, v46 :: v_dual_mul_f32 v21, v2, v19
	v_mul_f32_e32 v4, v7, v4
	v_fma_f32 v9, v9, 2.0, -v27
	s_delay_alu instid0(VALU_DEP_3)
	v_fmac_f32_e32 v21, v18, v3
	v_mul_f32_e32 v7, v3, v19
	s_wait_loadcnt 0xf
	v_mul_f32_e32 v19, v6, v75
	v_fma_f32 v1, v8, v1, -v4
	v_dual_mul_f32 v3, v20, v75 :: v_dual_mul_f32 v8, v10, v21
	v_fma_f32 v7, v18, v2, -v7
	s_wait_loadcnt 0xd
	v_dual_mul_f32 v18, v51, v53 :: v_dual_fmac_f32 v19, v74, v20
	s_delay_alu instid0(VALU_DEP_3) | instskip(NEXT) | instid1(VALU_DEP_3)
	v_fma_f32 v6, v74, v6, -v3
	v_fma_f32 v3, v5, v7, -v8
	s_wait_loadcnt 0xa
	v_mul_f32_e32 v8, v72, v77
	v_mul_f32_e32 v4, v9, v19
	v_mul_f32_e32 v19, v25, v19
	s_delay_alu instid0(VALU_DEP_3) | instskip(NEXT) | instid1(VALU_DEP_3)
	v_fmac_f32_e32 v8, v73, v76
	v_fmac_f32_e32 v4, v25, v6
	v_mul_f32_e32 v2, v5, v21
	s_delay_alu instid0(VALU_DEP_1) | instskip(SKIP_2) | instid1(VALU_DEP_3)
	v_dual_mul_f32 v5, v73, v77 :: v_dual_fmac_f32 v2, v10, v7
	v_mul_f32_e32 v10, v50, v53
	v_fma_f32 v7, v50, v52, -v18
	v_fma_f32 v20, v72, v76, -v5
	;; [unrolled: 1-line block ×3, first 2 shown]
	s_wait_loadcnt 0x7
	v_mul_f32_e32 v19, v55, v79
	v_fmac_f32_e32 v10, v51, v52
	v_dual_mul_f32 v18, v7, v45 :: v_dual_mul_f32 v9, v20, v63
	s_delay_alu instid0(VALU_DEP_3) | instskip(NEXT) | instid1(VALU_DEP_2)
	v_fma_f32 v19, v54, v78, -v19
	v_dual_mul_f32 v21, v10, v45 :: v_dual_fmac_f32 v18, v44, v10
	s_delay_alu instid0(VALU_DEP_3) | instskip(NEXT) | instid1(VALU_DEP_2)
	v_dual_fmac_f32 v9, v62, v8 :: v_dual_mul_f32 v10, v8, v63
	v_fma_f32 v7, v44, v7, -v21
	s_wait_loadcnt 0x4
	s_delay_alu instid0(VALU_DEP_3) | instskip(SKIP_1) | instid1(VALU_DEP_2)
	v_dual_mul_f32 v6, v33, v18 :: v_dual_mul_f32 v21, v64, v67
	v_mul_f32_e32 v18, v11, v18
	v_fmac_f32_e32 v6, v11, v7
	v_mul_f32_e32 v11, v19, v61
	v_fma_f32 v20, v62, v20, -v10
	v_dual_mul_f32 v10, v54, v79 :: v_dual_fmac_f32 v21, v65, v66
	s_delay_alu instid0(VALU_DEP_1)
	v_fmac_f32_e32 v10, v55, v78
	v_mul_f32_e32 v8, v30, v9
	v_mul_f32_e32 v9, v24, v9
	v_fma_f32 v7, v33, v7, -v18
	v_mul_f32_e32 v18, v65, v67
	v_mul_f32_e32 v22, v10, v61
	s_wait_loadcnt 0x3
	v_mul_f32_e32 v23, v21, v57
	v_fmac_f32_e32 v11, v60, v10
	v_fmac_f32_e32 v8, v24, v20
	v_fma_f32 v18, v64, v66, -v18
	v_fma_f32 v19, v60, v19, -v22
	s_wait_loadcnt 0x1
	v_mul_f32_e32 v24, v15, v17
	v_fma_f32 v9, v30, v20, -v9
	v_mul_f32_e32 v22, v18, v57
	v_fma_f32 v18, v56, v18, -v23
	v_mul_f32_e32 v23, v14, v17
	s_delay_alu instid0(VALU_DEP_3) | instskip(SKIP_1) | instid1(VALU_DEP_3)
	v_fmac_f32_e32 v22, v56, v21
	v_or_b32_e32 v21, 8, v98
	v_fmac_f32_e32 v23, v15, v16
	v_fma_f32 v16, v14, v16, -v24
	v_add_nc_u32_e32 v24, 20, v98
	v_dual_mul_f32 v17, v27, v22 :: v_dual_mul_f32 v10, v29, v11
	v_dual_mul_f32 v11, v28, v11 :: v_dual_mul_f32 v22, v26, v22
	s_wait_loadcnt 0x0
	v_mul_f32_e32 v25, v23, v13
	s_delay_alu instid0(VALU_DEP_3) | instskip(NEXT) | instid1(VALU_DEP_3)
	v_dual_fmac_f32 v17, v26, v18 :: v_dual_fmac_f32 v10, v28, v19
	v_fma_f32 v11, v29, v19, -v11
	v_mad_co_u64_u32 v[19:20], null, s8, v21, 0
	v_mad_co_u64_u32 v[14:15], null, s8, v24, 0
	v_fma_f32 v18, v27, v18, -v22
	v_fma_f32 v22, v12, v16, -v25
	v_dual_mul_f32 v26, v16, v13 :: v_dual_add_nc_u32 v25, 0x44, v98
	v_mov_b32_e32 v13, v20
	v_mad_co_u64_u32 v[15:16], null, s9, v24, v[15:16]
	s_delay_alu instid0(VALU_DEP_3) | instskip(NEXT) | instid1(VALU_DEP_3)
	v_fmac_f32_e32 v26, v12, v23
	v_mad_co_u64_u32 v[20:21], null, s9, v21, v[13:14]
	v_mad_co_u64_u32 v[12:13], null, s8, v100, 0
	s_delay_alu instid0(VALU_DEP_3) | instskip(SKIP_1) | instid1(VALU_DEP_4)
	v_mul_f32_e32 v21, v32, v26
	v_mul_f32_e32 v23, v31, v26
	v_lshlrev_b64_e32 v[19:20], 3, v[19:20]
	s_delay_alu instid0(VALU_DEP_3) | instskip(NEXT) | instid1(VALU_DEP_3)
	v_fmac_f32_e32 v21, v31, v22
	v_fma_f32 v22, v32, v22, -v23
	v_mad_co_u64_u32 v[23:24], null, s9, v100, v[13:14]
	v_lshlrev_b64_e32 v[14:15], 3, v[14:15]
	v_add_co_u32 v19, vcc_lo, v96, v19
	s_wait_alu 0xfffd
	v_add_co_ci_u32_e32 v20, vcc_lo, v97, v20, vcc_lo
	s_delay_alu instid0(VALU_DEP_4)
	v_mov_b32_e32 v13, v23
	global_store_b64 v[19:20], v[0:1], off
	v_or_b32_e32 v19, 56, v98
	v_lshlrev_b64_e32 v[0:1], 3, v[12:13]
	v_add_co_u32 v12, vcc_lo, v96, v14
	s_wait_alu 0xfffd
	v_add_co_ci_u32_e32 v13, vcc_lo, v97, v15, vcc_lo
	s_delay_alu instid0(VALU_DEP_3)
	v_add_co_u32 v0, vcc_lo, v96, v0
	s_wait_alu 0xfffd
	v_add_co_ci_u32_e32 v1, vcc_lo, v97, v1, vcc_lo
	global_store_b64 v[12:13], v[2:3], off
	v_mad_co_u64_u32 v[2:3], null, s8, v25, 0
	global_store_b64 v[0:1], v[4:5], off
	v_mad_co_u64_u32 v[4:5], null, s8, v99, 0
	v_dual_mov_b32 v1, v3 :: v_dual_add_nc_u32 v16, 44, v98
	s_delay_alu instid0(VALU_DEP_1) | instskip(NEXT) | instid1(VALU_DEP_1)
	v_mad_co_u64_u32 v[23:24], null, s8, v16, 0
	v_mov_b32_e32 v14, v24
	s_delay_alu instid0(VALU_DEP_1) | instskip(SKIP_1) | instid1(VALU_DEP_1)
	v_mad_co_u64_u32 v[14:15], null, s9, v16, v[14:15]
	v_mad_co_u64_u32 v[15:16], null, s8, v19, 0
	v_mov_b32_e32 v0, v16
	s_delay_alu instid0(VALU_DEP_1) | instskip(SKIP_1) | instid1(VALU_DEP_2)
	v_mad_co_u64_u32 v[19:20], null, s9, v19, v[0:1]
	v_mad_co_u64_u32 v[0:1], null, s9, v25, v[1:2]
	v_dual_mov_b32 v1, v5 :: v_dual_mov_b32 v16, v19
	s_delay_alu instid0(VALU_DEP_2) | instskip(NEXT) | instid1(VALU_DEP_2)
	v_mov_b32_e32 v3, v0
	v_mad_co_u64_u32 v[0:1], null, s9, v99, v[1:2]
	v_mov_b32_e32 v24, v14
	v_add_nc_u32_e32 v14, 0x5c, v98
	s_delay_alu instid0(VALU_DEP_4) | instskip(NEXT) | instid1(VALU_DEP_4)
	v_lshlrev_b64_e32 v[2:3], 3, v[2:3]
	v_mov_b32_e32 v5, v0
	s_delay_alu instid0(VALU_DEP_4) | instskip(NEXT) | instid1(VALU_DEP_4)
	v_lshlrev_b64_e32 v[12:13], 3, v[23:24]
	v_mad_co_u64_u32 v[23:24], null, s8, v14, 0
	s_delay_alu instid0(VALU_DEP_3) | instskip(NEXT) | instid1(VALU_DEP_3)
	v_lshlrev_b64_e32 v[4:5], 3, v[4:5]
	v_add_co_u32 v12, vcc_lo, v96, v12
	s_wait_alu 0xfffd
	s_delay_alu instid0(VALU_DEP_4) | instskip(NEXT) | instid1(VALU_DEP_4)
	v_add_co_ci_u32_e32 v13, vcc_lo, v97, v13, vcc_lo
	v_mov_b32_e32 v1, v24
	global_store_b64 v[12:13], v[6:7], off
	v_lshlrev_b64_e32 v[6:7], 3, v[15:16]
	v_mad_co_u64_u32 v[12:13], null, s9, v14, v[1:2]
	s_delay_alu instid0(VALU_DEP_2) | instskip(SKIP_1) | instid1(VALU_DEP_3)
	v_add_co_u32 v0, vcc_lo, v96, v6
	s_wait_alu 0xfffd
	v_add_co_ci_u32_e32 v1, vcc_lo, v97, v7, vcc_lo
	s_delay_alu instid0(VALU_DEP_3) | instskip(SKIP_3) | instid1(VALU_DEP_3)
	v_mov_b32_e32 v24, v12
	v_add_co_u32 v2, vcc_lo, v96, v2
	s_wait_alu 0xfffd
	v_add_co_ci_u32_e32 v3, vcc_lo, v97, v3, vcc_lo
	v_lshlrev_b64_e32 v[6:7], 3, v[23:24]
	v_add_co_u32 v4, vcc_lo, v96, v4
	s_wait_alu 0xfffd
	v_add_co_ci_u32_e32 v5, vcc_lo, v97, v5, vcc_lo
	s_delay_alu instid0(VALU_DEP_3)
	v_add_co_u32 v6, vcc_lo, v96, v6
	s_wait_alu 0xfffd
	v_add_co_ci_u32_e32 v7, vcc_lo, v97, v7, vcc_lo
	s_clause 0x3
	global_store_b64 v[0:1], v[8:9], off
	global_store_b64 v[2:3], v[10:11], off
	;; [unrolled: 1-line block ×4, first 2 shown]
	s_nop 0
	s_sendmsg sendmsg(MSG_DEALLOC_VGPRS)
	s_endpgm
	.section	.rodata,"a",@progbits
	.p2align	6, 0x0
	.amdhsa_kernel fft_rtc_back_len96_factors_3_4_8_wgs_192_tpt_8_dim2_sp_ip_CI_sbcc_twdbase8_3step_dirReg
		.amdhsa_group_segment_fixed_size 0
		.amdhsa_private_segment_fixed_size 0
		.amdhsa_kernarg_size 88
		.amdhsa_user_sgpr_count 2
		.amdhsa_user_sgpr_dispatch_ptr 0
		.amdhsa_user_sgpr_queue_ptr 0
		.amdhsa_user_sgpr_kernarg_segment_ptr 1
		.amdhsa_user_sgpr_dispatch_id 0
		.amdhsa_user_sgpr_private_segment_size 0
		.amdhsa_wavefront_size32 1
		.amdhsa_uses_dynamic_stack 0
		.amdhsa_enable_private_segment 0
		.amdhsa_system_sgpr_workgroup_id_x 1
		.amdhsa_system_sgpr_workgroup_id_y 0
		.amdhsa_system_sgpr_workgroup_id_z 0
		.amdhsa_system_sgpr_workgroup_info 0
		.amdhsa_system_vgpr_workitem_id 0
		.amdhsa_next_free_vgpr 156
		.amdhsa_next_free_sgpr 24
		.amdhsa_reserve_vcc 1
		.amdhsa_float_round_mode_32 0
		.amdhsa_float_round_mode_16_64 0
		.amdhsa_float_denorm_mode_32 3
		.amdhsa_float_denorm_mode_16_64 3
		.amdhsa_fp16_overflow 0
		.amdhsa_workgroup_processor_mode 1
		.amdhsa_memory_ordered 1
		.amdhsa_forward_progress 0
		.amdhsa_round_robin_scheduling 0
		.amdhsa_exception_fp_ieee_invalid_op 0
		.amdhsa_exception_fp_denorm_src 0
		.amdhsa_exception_fp_ieee_div_zero 0
		.amdhsa_exception_fp_ieee_overflow 0
		.amdhsa_exception_fp_ieee_underflow 0
		.amdhsa_exception_fp_ieee_inexact 0
		.amdhsa_exception_int_div_zero 0
	.end_amdhsa_kernel
	.text
.Lfunc_end0:
	.size	fft_rtc_back_len96_factors_3_4_8_wgs_192_tpt_8_dim2_sp_ip_CI_sbcc_twdbase8_3step_dirReg, .Lfunc_end0-fft_rtc_back_len96_factors_3_4_8_wgs_192_tpt_8_dim2_sp_ip_CI_sbcc_twdbase8_3step_dirReg
                                        ; -- End function
	.section	.AMDGPU.csdata,"",@progbits
; Kernel info:
; codeLenInByte = 9748
; NumSgprs: 26
; NumVgprs: 156
; ScratchSize: 0
; MemoryBound: 0
; FloatMode: 240
; IeeeMode: 1
; LDSByteSize: 0 bytes/workgroup (compile time only)
; SGPRBlocks: 3
; VGPRBlocks: 19
; NumSGPRsForWavesPerEU: 26
; NumVGPRsForWavesPerEU: 156
; Occupancy: 9
; WaveLimiterHint : 1
; COMPUTE_PGM_RSRC2:SCRATCH_EN: 0
; COMPUTE_PGM_RSRC2:USER_SGPR: 2
; COMPUTE_PGM_RSRC2:TRAP_HANDLER: 0
; COMPUTE_PGM_RSRC2:TGID_X_EN: 1
; COMPUTE_PGM_RSRC2:TGID_Y_EN: 0
; COMPUTE_PGM_RSRC2:TGID_Z_EN: 0
; COMPUTE_PGM_RSRC2:TIDIG_COMP_CNT: 0
	.text
	.p2alignl 7, 3214868480
	.fill 96, 4, 3214868480
	.type	__hip_cuid_3a26107b7b97f505,@object ; @__hip_cuid_3a26107b7b97f505
	.section	.bss,"aw",@nobits
	.globl	__hip_cuid_3a26107b7b97f505
__hip_cuid_3a26107b7b97f505:
	.byte	0                               ; 0x0
	.size	__hip_cuid_3a26107b7b97f505, 1

	.ident	"AMD clang version 19.0.0git (https://github.com/RadeonOpenCompute/llvm-project roc-6.4.0 25133 c7fe45cf4b819c5991fe208aaa96edf142730f1d)"
	.section	".note.GNU-stack","",@progbits
	.addrsig
	.addrsig_sym __hip_cuid_3a26107b7b97f505
	.amdgpu_metadata
---
amdhsa.kernels:
  - .args:
      - .actual_access:  read_only
        .address_space:  global
        .offset:         0
        .size:           8
        .value_kind:     global_buffer
      - .address_space:  global
        .offset:         8
        .size:           8
        .value_kind:     global_buffer
      - .actual_access:  read_only
        .address_space:  global
        .offset:         16
        .size:           8
        .value_kind:     global_buffer
      - .actual_access:  read_only
        .address_space:  global
        .offset:         24
        .size:           8
        .value_kind:     global_buffer
      - .offset:         32
        .size:           8
        .value_kind:     by_value
      - .actual_access:  read_only
        .address_space:  global
        .offset:         40
        .size:           8
        .value_kind:     global_buffer
      - .actual_access:  read_only
        .address_space:  global
        .offset:         48
        .size:           8
        .value_kind:     global_buffer
      - .offset:         56
        .size:           4
        .value_kind:     by_value
      - .actual_access:  read_only
        .address_space:  global
        .offset:         64
        .size:           8
        .value_kind:     global_buffer
      - .actual_access:  read_only
        .address_space:  global
        .offset:         72
        .size:           8
        .value_kind:     global_buffer
      - .address_space:  global
        .offset:         80
        .size:           8
        .value_kind:     global_buffer
    .group_segment_fixed_size: 0
    .kernarg_segment_align: 8
    .kernarg_segment_size: 88
    .language:       OpenCL C
    .language_version:
      - 2
      - 0
    .max_flat_workgroup_size: 192
    .name:           fft_rtc_back_len96_factors_3_4_8_wgs_192_tpt_8_dim2_sp_ip_CI_sbcc_twdbase8_3step_dirReg
    .private_segment_fixed_size: 0
    .sgpr_count:     26
    .sgpr_spill_count: 0
    .symbol:         fft_rtc_back_len96_factors_3_4_8_wgs_192_tpt_8_dim2_sp_ip_CI_sbcc_twdbase8_3step_dirReg.kd
    .uniform_work_group_size: 1
    .uses_dynamic_stack: false
    .vgpr_count:     156
    .vgpr_spill_count: 0
    .wavefront_size: 32
    .workgroup_processor_mode: 1
amdhsa.target:   amdgcn-amd-amdhsa--gfx1201
amdhsa.version:
  - 1
  - 2
...

	.end_amdgpu_metadata
